;; amdgpu-corpus repo=ROCm/rocFFT kind=compiled arch=gfx1030 opt=O3
	.text
	.amdgcn_target "amdgcn-amd-amdhsa--gfx1030"
	.amdhsa_code_object_version 6
	.protected	bluestein_single_back_len810_dim1_sp_op_CI_CI ; -- Begin function bluestein_single_back_len810_dim1_sp_op_CI_CI
	.globl	bluestein_single_back_len810_dim1_sp_op_CI_CI
	.p2align	8
	.type	bluestein_single_back_len810_dim1_sp_op_CI_CI,@function
bluestein_single_back_len810_dim1_sp_op_CI_CI: ; @bluestein_single_back_len810_dim1_sp_op_CI_CI
; %bb.0:
	s_load_dwordx4 s[8:11], s[4:5], 0x28
	v_mul_u32_u24_e32 v1, 0x32a, v0
	v_mov_b32_e32 v85, 0
	s_mov_b32 s0, exec_lo
	v_lshrrev_b32_e32 v1, 16, v1
	v_add_nc_u32_e32 v84, s6, v1
	s_waitcnt lgkmcnt(0)
	v_cmpx_gt_u64_e64 s[8:9], v[84:85]
	s_cbranch_execz .LBB0_39
; %bb.1:
	s_clause 0x1
	s_load_dwordx4 s[0:3], s[4:5], 0x18
	s_load_dwordx2 s[6:7], s[4:5], 0x0
	v_mul_lo_u16 v1, 0x51, v1
	v_sub_nc_u16 v27, v0, v1
	v_and_b32_e32 v116, 0xffff, v27
	v_lshlrev_b32_e32 v115, 3, v116
	s_waitcnt lgkmcnt(0)
	s_load_dwordx4 s[12:15], s[0:1], 0x0
	s_clause 0x2
	global_load_dwordx2 v[85:86], v115, s[6:7]
	global_load_dwordx2 v[87:88], v115, s[6:7] offset:648
	global_load_dwordx2 v[89:90], v115, s[6:7] offset:1296
	v_add_co_u32 v80, s0, s6, v115
	v_add_co_ci_u32_e64 v81, null, s7, 0, s0
	v_add_co_u32 v82, vcc_lo, 0x1000, v80
	v_add_co_ci_u32_e32 v83, vcc_lo, 0, v81, vcc_lo
	v_add_co_u32 v4, vcc_lo, 0x800, v80
	v_add_co_ci_u32_e32 v5, vcc_lo, 0, v81, vcc_lo
	s_clause 0x2
	global_load_dwordx2 v[93:94], v[82:83], off offset:224
	global_load_dwordx2 v[95:96], v[4:5], off offset:112
	global_load_dwordx2 v[91:92], v[4:5], off offset:760
	s_waitcnt lgkmcnt(0)
	v_mad_u64_u32 v[0:1], null, s14, v84, 0
	v_mad_u64_u32 v[2:3], null, s12, v116, 0
	s_mul_i32 s1, s13, 0x10e
	s_mul_hi_u32 s7, s12, 0x10e
	s_mul_i32 s0, s12, 0x10e
	s_mul_hi_u32 s9, s12, 0xfffffe35
	s_add_i32 s1, s7, s1
	s_mul_i32 s8, s13, 0xfffffe35
	v_mad_u64_u32 v[6:7], null, s15, v84, v[1:2]
	v_mad_u64_u32 v[7:8], null, s13, v116, v[3:4]
	s_mul_i32 s6, s12, 0xfffffe35
	s_sub_i32 s7, s9, s12
	s_lshl_b64 s[12:13], s[0:1], 3
	s_add_i32 s7, s7, s8
	v_mov_b32_e32 v1, v6
	s_lshl_b64 s[0:1], s[6:7], 3
	v_mov_b32_e32 v3, v7
	v_add_nc_u32_e32 v8, 0x800, v115
	v_lshlrev_b64 v[0:1], 3, v[0:1]
	v_lshlrev_b64 v[2:3], 3, v[2:3]
	v_add_co_u32 v0, vcc_lo, s10, v0
	v_add_co_ci_u32_e32 v1, vcc_lo, s11, v1, vcc_lo
	v_add_co_u32 v0, vcc_lo, v0, v2
	v_add_co_ci_u32_e32 v1, vcc_lo, v1, v3, vcc_lo
	;; [unrolled: 2-line block ×4, first 2 shown]
	s_clause 0x1
	global_load_dwordx2 v[9:10], v[0:1], off
	global_load_dwordx2 v[2:3], v[2:3], off
	v_add_co_u32 v0, vcc_lo, v6, s0
	v_add_co_ci_u32_e32 v1, vcc_lo, s1, v7, vcc_lo
	global_load_dwordx2 v[6:7], v[6:7], off
	v_add_co_u32 v11, vcc_lo, v0, s12
	v_add_co_ci_u32_e32 v12, vcc_lo, s13, v1, vcc_lo
	global_load_dwordx2 v[97:98], v[82:83], off offset:872
	v_add_co_u32 v13, vcc_lo, v11, s12
	v_add_co_ci_u32_e32 v14, vcc_lo, s13, v12, vcc_lo
	s_clause 0x1
	global_load_dwordx2 v[15:16], v[0:1], off
	global_load_dwordx2 v[11:12], v[11:12], off
	v_add_co_u32 v0, vcc_lo, v13, s0
	v_add_co_ci_u32_e32 v1, vcc_lo, s1, v14, vcc_lo
	global_load_dwordx2 v[13:14], v[13:14], off
	v_add_co_u32 v17, vcc_lo, v0, s12
	v_add_co_ci_u32_e32 v18, vcc_lo, s13, v1, vcc_lo
	global_load_dwordx2 v[19:20], v[0:1], off
	v_add_co_u32 v0, vcc_lo, v17, s12
	v_add_co_ci_u32_e32 v1, vcc_lo, s13, v18, vcc_lo
	global_load_dwordx2 v[99:100], v[4:5], off offset:1408
	global_load_dwordx2 v[4:5], v[17:18], off
	global_load_dwordx2 v[101:102], v[82:83], off offset:1520
	global_load_dwordx2 v[17:18], v[0:1], off
	s_load_dwordx2 s[6:7], s[4:5], 0x38
	s_load_dwordx4 s[8:11], s[2:3], 0x0
	v_cmp_gt_u16_e32 vcc_lo, 27, v27
	s_waitcnt vmcnt(11)
	v_mul_f32_e32 v21, v10, v86
	s_waitcnt vmcnt(10)
	v_mul_f32_e32 v23, v3, v96
	v_mul_f32_e32 v22, v9, v86
	;; [unrolled: 1-line block ×3, first 2 shown]
	v_fmac_f32_e32 v21, v9, v85
	s_waitcnt vmcnt(9)
	v_mul_f32_e32 v25, v7, v94
	v_mul_f32_e32 v26, v6, v94
	v_fmac_f32_e32 v23, v2, v95
	v_fma_f32 v22, v10, v85, -v22
	v_fma_f32 v24, v3, v95, -v24
	v_fmac_f32_e32 v25, v6, v93
	v_fma_f32 v26, v7, v93, -v26
	ds_write_b64 v115, v[23:24] offset:2160
	ds_write_b64 v115, v[25:26] offset:4320
	s_waitcnt vmcnt(7)
	v_mul_f32_e32 v2, v16, v88
	s_waitcnt vmcnt(6)
	v_mul_f32_e32 v6, v12, v92
	v_mul_f32_e32 v7, v11, v92
	;; [unrolled: 1-line block ×3, first 2 shown]
	s_waitcnt vmcnt(5)
	v_mul_f32_e32 v9, v13, v98
	v_mul_f32_e32 v10, v14, v98
	v_fmac_f32_e32 v2, v15, v87
	v_fmac_f32_e32 v6, v11, v91
	v_fma_f32 v7, v12, v91, -v7
	s_waitcnt vmcnt(4)
	v_mul_f32_e32 v15, v20, v90
	v_fma_f32 v11, v14, v97, -v9
	v_mul_f32_e32 v9, v19, v90
	v_fmac_f32_e32 v10, v13, v97
	s_waitcnt vmcnt(2)
	v_mul_f32_e32 v12, v5, v100
	v_mul_f32_e32 v13, v4, v100
	v_fmac_f32_e32 v15, v19, v89
	s_waitcnt vmcnt(0)
	v_mul_f32_e32 v19, v18, v102
	v_mul_f32_e32 v14, v17, v102
	v_fma_f32 v3, v16, v87, -v3
	v_fma_f32 v16, v20, v89, -v9
	v_add_nc_u32_e32 v9, 0x1000, v115
	v_fmac_f32_e32 v12, v4, v99
	v_fma_f32 v13, v5, v99, -v13
	v_fmac_f32_e32 v19, v17, v101
	v_fma_f32 v20, v18, v101, -v14
	ds_write2_b64 v115, v[21:22], v[2:3] offset1:81
	ds_write_b64 v115, v[15:16] offset:1296
	ds_write2_b64 v8, v[6:7], v[12:13] offset0:95 offset1:176
	ds_write2_b64 v9, v[10:11], v[19:20] offset0:109 offset1:190
	s_and_saveexec_b32 s2, vcc_lo
	s_cbranch_execz .LBB0_3
; %bb.2:
	v_add_co_u32 v0, s0, v0, s0
	v_add_co_ci_u32_e64 v1, s0, s1, v1, s0
	global_load_dwordx2 v[2:3], v[80:81], off offset:1944
	global_load_dwordx2 v[4:5], v[0:1], off
	v_add_co_u32 v0, s0, v0, s12
	v_add_co_ci_u32_e64 v1, s0, s13, v1, s0
	v_add_co_u32 v6, s0, 0x1800, v80
	v_add_co_ci_u32_e64 v7, s0, 0, v81, s0
	;; [unrolled: 2-line block ×3, first 2 shown]
	global_load_dwordx2 v[0:1], v[0:1], off
	s_clause 0x1
	global_load_dwordx2 v[12:13], v[82:83], off offset:8
	global_load_dwordx2 v[6:7], v[6:7], off offset:120
	global_load_dwordx2 v[10:11], v[10:11], off
	s_waitcnt vmcnt(4)
	v_mul_f32_e32 v14, v5, v3
	v_mul_f32_e32 v15, v4, v3
	v_fmac_f32_e32 v14, v4, v2
	v_fma_f32 v15, v5, v2, -v15
	s_waitcnt vmcnt(2)
	v_mul_f32_e32 v3, v1, v13
	v_mul_f32_e32 v4, v0, v13
	s_waitcnt vmcnt(0)
	v_mul_f32_e32 v16, v11, v7
	v_mul_f32_e32 v7, v10, v7
	v_fmac_f32_e32 v3, v0, v12
	v_fma_f32 v4, v1, v12, -v4
	v_fmac_f32_e32 v16, v10, v6
	v_fma_f32 v17, v11, v6, -v7
	ds_write_b64 v115, v[14:15] offset:1944
	ds_write_b64 v115, v[3:4] offset:4104
	;; [unrolled: 1-line block ×3, first 2 shown]
.LBB0_3:
	s_or_b32 exec_lo, exec_lo, s2
	v_add_nc_u32_e32 v0, 0x400, v115
	s_waitcnt lgkmcnt(0)
	s_barrier
	buffer_gl0_inv
	ds_read2_b64 v[4:7], v115 offset1:81
	ds_read2_b64 v[0:3], v0 offset0:34 offset1:142
	ds_read2_b64 v[12:15], v9 offset0:28 offset1:109
	;; [unrolled: 1-line block ×3, first 2 shown]
	ds_read_b64 v[22:23], v115 offset:5616
                                        ; implicit-def: $vgpr16
                                        ; implicit-def: $vgpr18
                                        ; implicit-def: $vgpr20
	s_and_saveexec_b32 s0, vcc_lo
	s_cbranch_execz .LBB0_5
; %bb.4:
	ds_read_b64 v[16:17], v115 offset:1944
	ds_read_b64 v[18:19], v115 offset:4104
	;; [unrolled: 1-line block ×3, first 2 shown]
.LBB0_5:
	s_or_b32 exec_lo, exec_lo, s0
	v_add_co_u32 v130, s0, 0x51, v116
	s_waitcnt lgkmcnt(2)
	v_add_f32_e32 v24, v2, v12
	v_add_co_ci_u32_e64 v70, null, 0, 0, s0
	v_add_co_u32 v129, s0, 0xa2, v116
	v_add_co_ci_u32_e64 v25, null, 0, 0, s0
	v_add_f32_e32 v25, v4, v2
	v_fma_f32 v4, -0.5, v24, v4
	v_sub_f32_e32 v27, v3, v13
	v_sub_f32_e32 v2, v2, v12
	s_load_dwordx2 s[2:3], s[4:5], 0x8
	v_add_f32_e32 v24, v25, v12
	v_add_f32_e32 v25, v3, v13
	v_fmamk_f32 v26, v27, 0x3f5db3d7, v4
	v_add_f32_e32 v3, v5, v3
	v_fmac_f32_e32 v4, 0xbf5db3d7, v27
	s_waitcnt lgkmcnt(0)
	v_add_f32_e32 v27, v8, v14
	v_fma_f32 v5, -0.5, v25, v5
	v_add_co_u32 v113, s0, 0xf3, v116
	v_add_f32_e32 v25, v3, v13
	v_add_f32_e32 v3, v6, v8
	v_fma_f32 v6, -0.5, v27, v6
	v_sub_f32_e32 v13, v9, v15
	v_fmamk_f32 v27, v2, 0xbf5db3d7, v5
	v_fmac_f32_e32 v5, 0x3f5db3d7, v2
	v_add_f32_e32 v2, v3, v14
	v_add_f32_e32 v3, v9, v15
	v_fmamk_f32 v12, v13, 0x3f5db3d7, v6
	v_add_f32_e32 v9, v7, v9
	v_fmac_f32_e32 v6, 0xbf5db3d7, v13
	v_add_f32_e32 v13, v10, v22
	v_fmac_f32_e32 v7, -0.5, v3
	v_sub_f32_e32 v8, v8, v14
	v_add_f32_e32 v3, v9, v15
	v_add_f32_e32 v9, v0, v10
	v_fma_f32 v0, -0.5, v13, v0
	v_sub_f32_e32 v15, v11, v23
	v_fmamk_f32 v13, v8, 0xbf5db3d7, v7
	v_fmac_f32_e32 v7, 0x3f5db3d7, v8
	v_add_f32_e32 v8, v9, v22
	v_add_f32_e32 v9, v11, v23
	v_fmamk_f32 v14, v15, 0x3f5db3d7, v0
	v_add_f32_e32 v11, v1, v11
	v_fmac_f32_e32 v0, 0xbf5db3d7, v15
	v_add_f32_e32 v15, v18, v20
	v_fmac_f32_e32 v1, -0.5, v9
	v_sub_f32_e32 v10, v10, v22
	v_add_f32_e32 v9, v11, v23
	v_add_f32_e32 v11, v19, v21
	v_fma_f32 v48, -0.5, v15, v16
	v_sub_f32_e32 v22, v19, v21
	v_fmamk_f32 v15, v10, 0xbf5db3d7, v1
	v_fmac_f32_e32 v1, 0x3f5db3d7, v10
	v_fma_f32 v49, -0.5, v11, v17
	v_sub_f32_e32 v10, v18, v20
	v_fmamk_f32 v50, v22, 0x3f5db3d7, v48
	v_fmac_f32_e32 v48, 0xbf5db3d7, v22
	v_mul_lo_u16 v11, v116, 3
	v_mov_b32_e32 v22, 3
	v_fmamk_f32 v51, v10, 0xbf5db3d7, v49
	v_fmac_f32_e32 v49, 0x3f5db3d7, v10
	v_mul_u32_u24_e32 v10, 3, v130
	v_add_co_ci_u32_e64 v114, null, 0, 0, s0
	v_lshlrev_b32_sdwa v119, v22, v11 dst_sel:DWORD dst_unused:UNUSED_PAD src0_sel:DWORD src1_sel:WORD_0
	v_mul_u32_u24_e32 v11, 3, v129
	v_lshlrev_b32_e32 v120, 3, v10
	v_mul_u32_u24_e32 v117, 3, v113
	s_barrier
	v_lshlrev_b32_e32 v118, 3, v11
	buffer_gl0_inv
	ds_write2_b64 v119, v[24:25], v[26:27] offset1:1
	ds_write_b64 v119, v[4:5] offset:16
	ds_write2_b64 v120, v[2:3], v[12:13] offset1:1
	ds_write_b64 v120, v[6:7] offset:16
	;; [unrolled: 2-line block ×3, first 2 shown]
	s_and_saveexec_b32 s0, vcc_lo
	s_cbranch_execz .LBB0_7
; %bb.6:
	v_add_f32_e32 v0, v17, v19
	v_add_f32_e32 v2, v16, v18
	v_lshlrev_b32_e32 v3, 3, v117
	v_add_f32_e32 v1, v0, v21
	v_add_f32_e32 v0, v2, v20
	ds_write2_b64 v3, v[0:1], v[50:51] offset1:1
	ds_write_b64 v3, v[48:49] offset:16
.LBB0_7:
	s_or_b32 exec_lo, exec_lo, s0
	v_and_b32_e32 v16, 0xff, v116
	s_waitcnt lgkmcnt(0)
	s_barrier
	buffer_gl0_inv
	v_add_nc_u32_e32 v30, 0xc00, v115
	v_mul_lo_u16 v0, 0xab, v16
	v_mov_b32_e32 v35, 30
	v_add_nc_u32_e32 v40, 0x1000, v115
	v_add_nc_u32_e32 v41, 0x400, v115
	v_lshrrev_b16 v34, 9, v0
	v_mul_lo_u16 v0, v34, 3
	v_mul_u32_u24_sdwa v39, v34, v35 dst_sel:DWORD dst_unused:UNUSED_PAD src0_sel:WORD_0 src1_sel:DWORD
	v_sub_nc_u16 v0, v116, v0
	v_and_b32_e32 v38, 0xff, v0
	v_mad_u64_u32 v[17:18], null, 0x48, v38, s[2:3]
	v_add_lshl_u32 v121, v39, v38, 3
	s_clause 0x4
	global_load_dwordx4 v[12:15], v[17:18], off
	global_load_dwordx4 v[8:11], v[17:18], off offset:16
	global_load_dwordx4 v[4:7], v[17:18], off offset:32
	;; [unrolled: 1-line block ×3, first 2 shown]
	global_load_dwordx2 v[103:104], v[17:18], off offset:64
	v_add_nc_u32_e32 v17, 0x800, v115
	ds_read2_b64 v[18:21], v115 offset1:81
	ds_read2_b64 v[22:25], v115 offset0:162 offset1:243
	ds_read2_b64 v[30:33], v30 offset0:102 offset1:183
	;; [unrolled: 1-line block ×4, first 2 shown]
	s_waitcnt vmcnt(0) lgkmcnt(0)
	s_barrier
	buffer_gl0_inv
	v_mul_f32_e32 v38, v21, v13
	v_mul_f32_e32 v39, v20, v13
	;; [unrolled: 1-line block ×18, first 2 shown]
	v_fma_f32 v22, v22, v14, -v42
	v_fmac_f32_e32 v43, v23, v14
	v_fma_f32 v23, v24, v8, -v44
	v_fmac_f32_e32 v45, v25, v8
	;; [unrolled: 2-line block ×9, first 2 shown]
	v_add_f32_e32 v29, v18, v22
	v_add_f32_e32 v30, v20, v25
	v_sub_f32_e32 v34, v20, v22
	v_sub_f32_e32 v35, v25, v27
	v_add_f32_e32 v36, v19, v43
	v_add_f32_e32 v37, v47, v55
	v_sub_f32_e32 v38, v43, v47
	v_sub_f32_e32 v42, v59, v55
	v_add_f32_e32 v44, v43, v59
	v_add_f32_e32 v56, v21, v26
	;; [unrolled: 1-line block ×5, first 2 shown]
	v_sub_f32_e32 v31, v22, v20
	v_sub_f32_e32 v32, v27, v25
	v_add_f32_e32 v33, v22, v27
	v_sub_f32_e32 v46, v47, v43
	v_sub_f32_e32 v52, v55, v59
	v_add_f32_e32 v54, v24, v23
	v_sub_f32_e32 v58, v23, v21
	v_sub_f32_e32 v63, v21, v23
	;; [unrolled: 1-line block ×3, first 2 shown]
	v_add_f32_e32 v69, v39, v45
	v_sub_f32_e32 v71, v53, v45
	v_sub_f32_e32 v73, v20, v25
	;; [unrolled: 1-line block ×4, first 2 shown]
	v_fma_f32 v77, -0.5, v30, v18
	v_fma_f32 v37, -0.5, v37, v19
	;; [unrolled: 1-line block ×3, first 2 shown]
	v_add_f32_e32 v19, v34, v35
	v_add_f32_e32 v30, v38, v42
	v_fma_f32 v34, -0.5, v56, v24
	v_fma_f32 v42, -0.5, v67, v39
	v_add_f32_e32 v20, v29, v20
	v_add_f32_e32 v29, v36, v47
	v_sub_f32_e32 v75, v53, v57
	v_sub_f32_e32 v76, v21, v26
	v_fmac_f32_e32 v24, -0.5, v62
	v_fmac_f32_e32 v39, -0.5, v68
	v_sub_f32_e32 v60, v28, v26
	v_sub_f32_e32 v66, v61, v57
	;; [unrolled: 1-line block ×4, first 2 shown]
	v_fma_f32 v33, -0.5, v33, v18
	v_add_f32_e32 v18, v31, v32
	v_add_f32_e32 v31, v46, v52
	v_add_f32_e32 v46, v69, v53
	v_add_f32_e32 v21, v54, v21
	v_add_f32_e32 v20, v20, v25
	v_add_f32_e32 v25, v29, v55
	v_fmamk_f32 v29, v45, 0x3f737871, v34
	v_fmamk_f32 v55, v23, 0xbf737871, v42
	v_sub_f32_e32 v64, v26, v28
	v_sub_f32_e32 v72, v57, v61
	;; [unrolled: 1-line block ×3, first 2 shown]
	v_fmac_f32_e32 v34, 0xbf737871, v45
	v_fmamk_f32 v54, v75, 0xbf737871, v24
	v_fmac_f32_e32 v24, 0x3f737871, v75
	v_fmamk_f32 v56, v76, 0x3f737871, v39
	v_fmac_f32_e32 v39, 0xbf737871, v76
	v_fmac_f32_e32 v42, 0x3f737871, v23
	v_add_f32_e32 v32, v58, v60
	v_add_f32_e32 v38, v65, v66
	;; [unrolled: 1-line block ×4, first 2 shown]
	v_fmamk_f32 v46, v22, 0xbf737871, v37
	v_fmac_f32_e32 v37, 0x3f737871, v22
	v_fmac_f32_e32 v29, 0x3f167918, v75
	;; [unrolled: 1-line block ×3, first 2 shown]
	v_add_f32_e32 v35, v63, v64
	v_add_f32_e32 v36, v71, v72
	v_fmamk_f32 v47, v43, 0x3f737871, v77
	v_fmac_f32_e32 v77, 0xbf737871, v43
	v_fmamk_f32 v52, v74, 0xbf737871, v33
	v_fmac_f32_e32 v33, 0x3f737871, v74
	;; [unrolled: 2-line block ×3, first 2 shown]
	v_fmac_f32_e32 v34, 0xbf167918, v75
	v_fmac_f32_e32 v54, 0x3f167918, v45
	;; [unrolled: 1-line block ×10, first 2 shown]
	v_add_f32_e32 v20, v20, v27
	v_fmac_f32_e32 v47, 0x3f167918, v74
	v_fmac_f32_e32 v77, 0xbf167918, v74
	;; [unrolled: 1-line block ×4, first 2 shown]
	v_add_f32_e32 v25, v25, v59
	v_fmac_f32_e32 v53, 0xbf167918, v22
	v_fmac_f32_e32 v44, 0x3f167918, v22
	v_add_f32_e32 v21, v21, v28
	v_add_f32_e32 v22, v26, v61
	v_fmac_f32_e32 v34, 0x3e9e377a, v32
	v_fmac_f32_e32 v54, 0x3e9e377a, v35
	;; [unrolled: 1-line block ×8, first 2 shown]
	v_mul_f32_e32 v30, 0x3f167918, v55
	v_mul_f32_e32 v35, 0xbf167918, v29
	v_fmac_f32_e32 v47, 0x3e9e377a, v18
	v_fmac_f32_e32 v77, 0x3e9e377a, v18
	;; [unrolled: 1-line block ×6, first 2 shown]
	v_add_f32_e32 v18, v20, v21
	v_add_f32_e32 v19, v25, v22
	v_sub_f32_e32 v20, v20, v21
	v_sub_f32_e32 v21, v25, v22
	v_mul_f32_e32 v31, 0x3f737871, v56
	v_mul_f32_e32 v22, 0x3e9e377a, v24
	;; [unrolled: 1-line block ×6, first 2 shown]
	v_fmac_f32_e32 v30, 0x3f4f1bbd, v29
	v_fmac_f32_e32 v35, 0x3f4f1bbd, v55
	;; [unrolled: 1-line block ×3, first 2 shown]
	v_fma_f32 v38, 0x3f737871, v39, -v22
	v_fma_f32 v39, 0x3f167918, v42, -v23
	v_fmac_f32_e32 v36, 0x3e9e377a, v56
	v_fma_f32 v42, 0xbf737871, v24, -v25
	v_fma_f32 v43, 0xbf167918, v34, -v26
	v_add_f32_e32 v22, v47, v30
	v_add_f32_e32 v23, v46, v35
	;; [unrolled: 1-line block ×8, first 2 shown]
	v_sub_f32_e32 v30, v47, v30
	v_sub_f32_e32 v32, v52, v31
	v_sub_f32_e32 v34, v33, v38
	v_sub_f32_e32 v31, v46, v35
	v_sub_f32_e32 v33, v53, v36
	v_sub_f32_e32 v64, v77, v39
	v_sub_f32_e32 v35, v44, v42
	v_sub_f32_e32 v65, v37, v43
	ds_write2_b64 v121, v[18:19], v[22:23] offset1:3
	ds_write2_b64 v121, v[24:25], v[26:27] offset0:6 offset1:9
	ds_write2_b64 v121, v[28:29], v[20:21] offset0:12 offset1:15
	;; [unrolled: 1-line block ×4, first 2 shown]
	s_waitcnt lgkmcnt(0)
	s_barrier
	buffer_gl0_inv
	ds_read2_b64 v[36:39], v115 offset1:81
	ds_read2_b64 v[32:35], v41 offset0:34 offset1:142
	ds_read2_b64 v[40:43], v40 offset0:28 offset1:109
	ds_read2_b64 v[44:47], v17 offset0:95 offset1:176
	ds_read_b64 v[52:53], v115 offset:5616
	s_and_saveexec_b32 s0, vcc_lo
	s_cbranch_execz .LBB0_9
; %bb.8:
	ds_read_b64 v[64:65], v115 offset:1944
	ds_read_b64 v[50:51], v115 offset:4104
	;; [unrolled: 1-line block ×3, first 2 shown]
.LBB0_9:
	s_or_b32 exec_lo, exec_lo, s0
	v_mul_lo_u16 v16, 0x89, v16
	v_and_b32_e32 v17, 0xff, v130
	v_and_b32_e32 v71, 0xff, v129
	v_mov_b32_e32 v18, 0x8889
	v_mov_b32_e32 v60, 0x5a
	v_lshrrev_b16 v54, 12, v16
	v_mul_lo_u16 v16, 0x89, v17
	v_mul_lo_u16 v19, 0x89, v71
	;; [unrolled: 1-line block ×3, first 2 shown]
	v_lshrrev_b16 v55, 12, v16
	v_lshrrev_b16 v56, 12, v19
	v_mul_u32_u24_sdwa v54, v54, v60 dst_sel:DWORD dst_unused:UNUSED_PAD src0_sel:WORD_0 src1_sel:DWORD
	v_sub_nc_u16 v16, v116, v17
	v_mul_u32_u24_sdwa v17, v113, v18 dst_sel:DWORD dst_unused:UNUSED_PAD src0_sel:WORD_0 src1_sel:DWORD
	v_mul_lo_u16 v18, v55, 30
	v_mul_u32_u24_sdwa v55, v55, v60 dst_sel:DWORD dst_unused:UNUSED_PAD src0_sel:WORD_0 src1_sel:DWORD
	v_and_b32_e32 v57, 0xff, v16
	v_lshrrev_b32_e32 v16, 20, v17
	v_mul_lo_u16 v17, v56, 30
	v_sub_nc_u16 v18, v130, v18
	v_mul_u32_u24_sdwa v56, v56, v60 dst_sel:DWORD dst_unused:UNUSED_PAD src0_sel:WORD_0 src1_sel:DWORD
	v_lshlrev_b32_e32 v19, 4, v57
	v_mul_lo_u16 v16, v16, 30
	v_sub_nc_u16 v17, v129, v17
	v_and_b32_e32 v58, 0xff, v18
	v_add_lshl_u32 v126, v54, v57, 3
	global_load_dwordx4 v[28:31], v19, s[2:3] offset:216
	v_sub_nc_u16 v122, v113, v16
	v_and_b32_e32 v59, 0xff, v17
	v_lshlrev_b32_e32 v16, 4, v58
	v_add_lshl_u32 v125, v55, v58, 3
	v_lshlrev_b16 v17, 4, v122
	v_lshlrev_b32_e32 v18, 4, v59
	global_load_dwordx4 v[24:27], v16, s[2:3] offset:216
	v_add_lshl_u32 v124, v56, v59, 3
	global_load_dwordx4 v[20:23], v18, s[2:3] offset:216
	v_and_b32_e32 v16, 0xffff, v17
	v_add_co_u32 v16, s0, s2, v16
	v_add_co_ci_u32_e64 v17, null, s3, 0, s0
	global_load_dwordx4 v[16:19], v[16:17], off offset:216
	s_waitcnt vmcnt(0) lgkmcnt(0)
	s_barrier
	buffer_gl0_inv
	v_mul_f32_e32 v54, v35, v29
	v_mul_f32_e32 v55, v34, v29
	;; [unrolled: 1-line block ×4, first 2 shown]
	v_fma_f32 v34, v34, v28, -v54
	v_fmac_f32_e32 v55, v35, v28
	v_fma_f32 v35, v40, v30, -v56
	v_fmac_f32_e32 v57, v41, v30
	v_mul_f32_e32 v40, v45, v25
	v_mul_f32_e32 v41, v44, v25
	;; [unrolled: 1-line block ×8, first 2 shown]
	v_fma_f32 v40, v44, v24, -v40
	v_fmac_f32_e32 v41, v45, v24
	v_fma_f32 v42, v42, v26, -v54
	v_fmac_f32_e32 v56, v43, v26
	;; [unrolled: 2-line block ×3, first 2 shown]
	v_fma_f32 v44, v52, v22, -v60
	v_add_f32_e32 v54, v34, v35
	v_mul_f32_e32 v45, v51, v17
	v_mul_f32_e32 v46, v50, v17
	;; [unrolled: 1-line block ×4, first 2 shown]
	v_sub_f32_e32 v58, v55, v57
	v_add_f32_e32 v60, v37, v55
	v_add_f32_e32 v55, v55, v57
	v_fmac_f32_e32 v61, v53, v22
	v_add_f32_e32 v53, v36, v34
	v_fma_f32 v50, v50, v16, -v45
	v_fmac_f32_e32 v46, v51, v16
	v_fma_f32 v51, v48, v18, -v47
	v_fmac_f32_e32 v52, v49, v18
	v_fma_f32 v36, -0.5, v54, v36
	v_fma_f32 v37, -0.5, v55, v37
	v_add_f32_e32 v55, v32, v43
	v_sub_f32_e32 v62, v34, v35
	v_add_f32_e32 v34, v53, v35
	v_add_f32_e32 v35, v60, v57
	v_add_f32_e32 v45, v38, v40
	v_add_f32_e32 v47, v40, v42
	v_add_f32_e32 v49, v39, v41
	v_add_f32_e32 v53, v41, v56
	v_sub_f32_e32 v54, v40, v42
	v_add_f32_e32 v57, v43, v44
	v_sub_f32_e32 v60, v59, v61
	v_add_f32_e32 v63, v33, v59
	v_add_f32_e32 v59, v59, v61
	v_sub_f32_e32 v66, v43, v44
	v_fmamk_f32 v40, v58, 0x3f5db3d7, v36
	v_fmac_f32_e32 v36, 0xbf5db3d7, v58
	v_add_f32_e32 v44, v55, v44
	v_add_f32_e32 v55, v50, v51
	;; [unrolled: 1-line block ×3, first 2 shown]
	v_sub_f32_e32 v48, v41, v56
	v_add_f32_e32 v43, v49, v56
	v_fmac_f32_e32 v39, -0.5, v53
	v_fma_f32 v32, -0.5, v57, v32
	v_fmac_f32_e32 v33, -0.5, v59
	v_add_f32_e32 v53, v64, v50
	v_sub_f32_e32 v56, v46, v52
	v_add_f32_e32 v57, v65, v46
	v_sub_f32_e32 v50, v50, v51
	v_fmac_f32_e32 v64, -0.5, v55
	v_fmac_f32_e32 v65, -0.5, v58
	v_fma_f32 v38, -0.5, v47, v38
	v_fmamk_f32 v41, v62, 0xbf5db3d7, v37
	v_fmac_f32_e32 v37, 0x3f5db3d7, v62
	v_fmamk_f32 v49, v66, 0xbf5db3d7, v33
	v_fmac_f32_e32 v33, 0x3f5db3d7, v66
	v_add_f32_e32 v105, v53, v51
	v_add_f32_e32 v106, v57, v52
	v_fmamk_f32 v66, v56, 0x3f5db3d7, v64
	v_fmac_f32_e32 v64, 0xbf5db3d7, v56
	v_fmamk_f32 v67, v50, 0xbf5db3d7, v65
	v_fmac_f32_e32 v65, 0x3f5db3d7, v50
	v_add_f32_e32 v42, v45, v42
	v_fmamk_f32 v46, v48, 0x3f5db3d7, v38
	v_fmamk_f32 v47, v54, 0xbf5db3d7, v39
	v_fmac_f32_e32 v38, 0xbf5db3d7, v48
	v_fmac_f32_e32 v39, 0x3f5db3d7, v54
	v_add_f32_e32 v45, v63, v61
	v_fmamk_f32 v48, v60, 0x3f5db3d7, v32
	v_fmac_f32_e32 v32, 0xbf5db3d7, v60
	ds_write2_b64 v126, v[34:35], v[40:41] offset1:30
	ds_write_b64 v126, v[36:37] offset:480
	ds_write2_b64 v125, v[42:43], v[46:47] offset1:30
	ds_write_b64 v125, v[38:39] offset:480
	;; [unrolled: 2-line block ×3, first 2 shown]
	s_and_saveexec_b32 s0, vcc_lo
	s_cbranch_execz .LBB0_11
; %bb.10:
	v_mov_b32_e32 v32, 3
	v_lshlrev_b32_sdwa v32, v32, v122 dst_sel:DWORD dst_unused:UNUSED_PAD src0_sel:DWORD src1_sel:WORD_0
	v_add_nc_u32_e32 v33, 0x1000, v32
	ds_write2_b64 v33, v[105:106], v[66:67] offset0:208 offset1:238
	ds_write_b64 v32, v[64:65] offset:6240
.LBB0_11:
	s_or_b32 exec_lo, exec_lo, s0
	v_add_nc_u32_e32 v32, 0x400, v115
	v_add_nc_u32_e32 v33, 0x1000, v115
	;; [unrolled: 1-line block ×3, first 2 shown]
	s_waitcnt lgkmcnt(0)
	s_barrier
	buffer_gl0_inv
	ds_read2_b64 v[52:55], v115 offset1:81
	ds_read2_b64 v[36:39], v32 offset0:34 offset1:142
	ds_read2_b64 v[60:63], v33 offset0:28 offset1:109
	;; [unrolled: 1-line block ×3, first 2 shown]
	ds_read_b64 v[68:69], v115 offset:5616
	s_and_saveexec_b32 s0, vcc_lo
	s_cbranch_execz .LBB0_13
; %bb.12:
	ds_read_b64 v[105:106], v115 offset:1944
	ds_read_b64 v[66:67], v115 offset:4104
	;; [unrolled: 1-line block ×3, first 2 shown]
.LBB0_13:
	s_or_b32 exec_lo, exec_lo, s0
	v_add_co_u32 v40, s0, v116, -9
	v_add_co_ci_u32_e64 v41, null, 0, -1, s0
	v_cmp_gt_u16_e64 s0, 9, v116
	v_mov_b32_e32 v42, 0x2d83
	v_lshlrev_b32_e32 v73, 4, v116
	v_mov_b32_e32 v74, 0x10e
	v_cndmask_b32_e64 v72, v41, v70, s0
	v_mul_lo_u16 v41, 0xb7, v71
	v_cndmask_b32_e64 v71, v40, v130, s0
	v_mul_u32_u24_sdwa v42, v113, v42 dst_sel:DWORD dst_unused:UNUSED_PAD src0_sel:WORD_0 src1_sel:DWORD
	global_load_dwordx4 v[32:35], v73, s[2:3] offset:696
	v_lshrrev_b16 v70, 14, v41
	v_lshlrev_b64 v[40:41], 4, v[71:72]
	v_lshrrev_b32_e32 v42, 20, v42
	v_mul_lo_u16 v43, 0x5a, v70
	v_mul_u32_u24_sdwa v70, v70, v74 dst_sel:DWORD dst_unused:UNUSED_PAD src0_sel:WORD_0 src1_sel:DWORD
	v_add_co_u32 v40, s0, s2, v40
	v_add_co_ci_u32_e64 v41, s0, s3, v41, s0
	v_sub_nc_u16 v43, v129, v43
	global_load_dwordx4 v[48:51], v[40:41], off offset:696
	v_mul_lo_u16 v40, 0x5a, v42
	v_and_b32_e32 v72, 0xff, v43
	v_sub_nc_u16 v123, v113, v40
	v_lshlrev_b32_e32 v41, 4, v72
	v_add_lshl_u32 v127, v70, v72, 3
	v_lshlrev_b16 v40, 4, v123
	global_load_dwordx4 v[44:47], v41, s[2:3] offset:696
	v_and_b32_e32 v40, 0xffff, v40
	v_add_co_u32 v40, s0, s2, v40
	v_add_co_ci_u32_e64 v41, null, s3, 0, s0
	v_cmp_lt_u16_e64 s0, 8, v116
	global_load_dwordx4 v[40:43], v[40:41], off offset:696
	s_waitcnt vmcnt(0) lgkmcnt(0)
	v_cndmask_b32_e64 v75, 0, 0x10e, s0
	v_add_co_u32 v133, s0, s2, v73
	s_barrier
	buffer_gl0_inv
	v_add_lshl_u32 v128, v71, v75, 3
	v_add_co_ci_u32_e64 v134, null, s3, 0, s0
	v_mul_f32_e32 v70, v39, v33
	v_mul_f32_e32 v71, v38, v33
	;; [unrolled: 1-line block ×4, first 2 shown]
	v_fma_f32 v38, v38, v32, -v70
	v_fmac_f32_e32 v71, v39, v32
	v_fma_f32 v39, v60, v34, -v72
	v_fmac_f32_e32 v73, v61, v34
	v_add_f32_e32 v60, v52, v38
	v_add_f32_e32 v72, v53, v71
	v_add_f32_e32 v61, v38, v39
	v_sub_f32_e32 v70, v71, v73
	v_add_f32_e32 v71, v71, v73
	v_sub_f32_e32 v74, v38, v39
	v_add_f32_e32 v38, v60, v39
	v_fma_f32 v52, -0.5, v61, v52
	v_add_f32_e32 v39, v72, v73
	v_fma_f32 v53, -0.5, v71, v53
	v_mul_f32_e32 v71, v57, v49
	v_mul_f32_e32 v72, v56, v49
	;; [unrolled: 1-line block ×4, first 2 shown]
	v_fmamk_f32 v60, v70, 0x3f5db3d7, v52
	v_fmamk_f32 v61, v74, 0xbf5db3d7, v53
	v_fma_f32 v56, v56, v48, -v71
	v_fmac_f32_e32 v72, v57, v48
	v_fma_f32 v57, v62, v50, -v73
	v_fmac_f32_e32 v52, 0xbf5db3d7, v70
	v_fmac_f32_e32 v75, v63, v50
	v_mul_f32_e32 v62, v59, v45
	v_mul_f32_e32 v63, v58, v45
	;; [unrolled: 1-line block ×4, first 2 shown]
	ds_write2_b64 v115, v[38:39], v[60:61] offset1:90
	v_add_f32_e32 v39, v56, v57
	v_add_f32_e32 v61, v55, v72
	;; [unrolled: 1-line block ×3, first 2 shown]
	v_sub_f32_e32 v60, v72, v75
	v_add_f32_e32 v72, v72, v75
	v_sub_f32_e32 v73, v56, v57
	v_fma_f32 v56, v58, v44, -v62
	v_fmac_f32_e32 v63, v59, v44
	v_fma_f32 v58, v68, v46, -v70
	v_fmac_f32_e32 v71, v69, v46
	v_fma_f32 v54, -0.5, v39, v54
	v_add_f32_e32 v39, v61, v75
	v_mul_f32_e32 v59, v67, v41
	v_mul_f32_e32 v62, v66, v41
	;; [unrolled: 1-line block ×4, first 2 shown]
	v_fmac_f32_e32 v53, 0x3f5db3d7, v74
	v_fmac_f32_e32 v55, -0.5, v72
	v_sub_f32_e32 v72, v63, v71
	v_add_f32_e32 v74, v37, v63
	v_add_f32_e32 v63, v63, v71
	v_fma_f32 v66, v66, v40, -v59
	v_fmac_f32_e32 v62, v67, v40
	v_fma_f32 v64, v64, v42, -v61
	v_fmac_f32_e32 v68, v65, v42
	v_add_f32_e32 v69, v36, v56
	v_fmac_f32_e32 v37, -0.5, v63
	v_add_f32_e32 v70, v56, v58
	v_add_f32_e32 v63, v66, v64
	;; [unrolled: 1-line block ×3, first 2 shown]
	v_sub_f32_e32 v75, v56, v58
	v_add_f32_e32 v58, v69, v58
	v_add_f32_e32 v65, v105, v66
	v_sub_f32_e32 v69, v62, v68
	v_add_f32_e32 v62, v106, v62
	v_fmac_f32_e32 v105, -0.5, v63
	v_sub_f32_e32 v63, v66, v64
	v_fmac_f32_e32 v106, -0.5, v67
	v_fma_f32 v36, -0.5, v70, v36
	v_add_f32_e32 v107, v65, v64
	v_add_f32_e32 v108, v62, v68
	v_fmamk_f32 v109, v69, 0x3f5db3d7, v105
	v_fmac_f32_e32 v105, 0xbf5db3d7, v69
	v_fmamk_f32 v110, v63, 0xbf5db3d7, v106
	v_fmac_f32_e32 v106, 0x3f5db3d7, v63
	v_add_f32_e32 v38, v38, v57
	v_fmamk_f32 v56, v60, 0x3f5db3d7, v54
	v_fmamk_f32 v57, v73, 0xbf5db3d7, v55
	v_fmac_f32_e32 v54, 0xbf5db3d7, v60
	v_fmac_f32_e32 v55, 0x3f5db3d7, v73
	v_add_f32_e32 v59, v74, v71
	v_fmamk_f32 v60, v72, 0x3f5db3d7, v36
	v_fmamk_f32 v61, v75, 0xbf5db3d7, v37
	v_fmac_f32_e32 v36, 0xbf5db3d7, v72
	v_fmac_f32_e32 v37, 0x3f5db3d7, v75
	ds_write_b64 v115, v[52:53] offset:1440
	ds_write2_b64 v128, v[38:39], v[56:57] offset1:90
	ds_write_b64 v128, v[54:55] offset:1440
	ds_write2_b64 v127, v[58:59], v[60:61] offset1:90
	ds_write_b64 v127, v[36:37] offset:1440
	s_and_saveexec_b32 s0, vcc_lo
	s_cbranch_execz .LBB0_15
; %bb.14:
	v_mov_b32_e32 v36, 3
	v_lshlrev_b32_sdwa v36, v36, v123 dst_sel:DWORD dst_unused:UNUSED_PAD src0_sel:DWORD src1_sel:WORD_0
	v_add_nc_u32_e32 v37, 0x1000, v36
	ds_write2_b64 v37, v[107:108], v[109:110] offset0:28 offset1:118
	ds_write_b64 v36, v[105:106] offset:5760
.LBB0_15:
	s_or_b32 exec_lo, exec_lo, s0
	v_add_nc_u32_e32 v36, 0x400, v115
	v_add_nc_u32_e32 v131, 0x1000, v115
	;; [unrolled: 1-line block ×3, first 2 shown]
	s_waitcnt lgkmcnt(0)
	s_barrier
	buffer_gl0_inv
	ds_read2_b64 v[64:67], v115 offset1:81
	ds_read2_b64 v[68:71], v36 offset0:34 offset1:142
	ds_read2_b64 v[76:79], v131 offset0:28 offset1:109
	;; [unrolled: 1-line block ×3, first 2 shown]
	ds_read_b64 v[111:112], v115 offset:5616
	s_and_saveexec_b32 s0, vcc_lo
	s_cbranch_execz .LBB0_17
; %bb.16:
	ds_read_b64 v[107:108], v115 offset:1944
	ds_read_b64 v[109:110], v115 offset:4104
	;; [unrolled: 1-line block ×3, first 2 shown]
.LBB0_17:
	s_or_b32 exec_lo, exec_lo, s0
	v_add_co_u32 v36, s0, 0x800, v133
	v_add_co_ci_u32_e64 v37, s0, 0, v134, s0
	v_lshlrev_b32_e32 v38, 4, v130
	global_load_dwordx4 v[52:55], v[36:37], off offset:88
	v_lshlrev_b32_e32 v36, 4, v129
	v_add_co_u32 v37, s0, s2, v38
	v_add_co_ci_u32_e64 v38, null, s3, 0, s0
	v_add_co_u32 v39, s0, s2, v36
	v_add_co_ci_u32_e64 v56, null, s3, 0, s0
	v_add_co_u32 v36, s0, 0x800, v37
	v_add_co_ci_u32_e64 v37, s0, 0, v38, s0
	v_add_co_u32 v38, s0, 0x800, v39
	v_add_co_ci_u32_e64 v39, s0, 0, v56, s0
	s_clause 0x1
	global_load_dwordx4 v[60:63], v[36:37], off offset:88
	global_load_dwordx4 v[56:59], v[38:39], off offset:88
	v_add_co_u32 v36, s0, 0xffffffe5, v116
	v_add_co_ci_u32_e64 v37, null, 0, -1, s0
	v_cndmask_b32_e32 v36, v36, v113, vcc_lo
	v_cndmask_b32_e32 v37, v37, v114, vcc_lo
	v_lshlrev_b64 v[36:37], 4, v[36:37]
	v_add_co_u32 v36, s0, s2, v36
	v_add_co_ci_u32_e64 v37, s0, s3, v37, s0
	v_add_co_u32 v36, s0, 0x800, v36
	v_add_co_ci_u32_e64 v37, s0, 0, v37, s0
	global_load_dwordx4 v[36:39], v[36:37], off offset:88
	s_waitcnt vmcnt(3) lgkmcnt(3)
	v_mul_f32_e32 v113, v71, v53
	v_mul_f32_e32 v114, v70, v53
	s_waitcnt lgkmcnt(2)
	v_mul_f32_e32 v129, v77, v55
	v_mul_f32_e32 v130, v76, v55
	v_fma_f32 v70, v70, v52, -v113
	v_fmac_f32_e32 v114, v71, v52
	v_fma_f32 v71, v76, v54, -v129
	v_fmac_f32_e32 v130, v77, v54
	v_add_f32_e32 v137, v64, v70
	v_add_f32_e32 v140, v65, v114
	;; [unrolled: 1-line block ×3, first 2 shown]
	v_sub_f32_e32 v139, v114, v130
	v_add_f32_e32 v114, v114, v130
	v_sub_f32_e32 v141, v70, v71
	v_add_f32_e32 v70, v137, v71
	v_fma_f32 v64, -0.5, v138, v64
	v_add_f32_e32 v71, v140, v130
	s_waitcnt vmcnt(2) lgkmcnt(1)
	v_mul_f32_e32 v76, v73, v61
	v_mul_f32_e32 v77, v72, v61
	;; [unrolled: 1-line block ×3, first 2 shown]
	v_fma_f32 v65, -0.5, v114, v65
	v_mul_f32_e32 v129, v78, v63
	s_waitcnt vmcnt(1) lgkmcnt(0)
	v_mul_f32_e32 v135, v112, v59
	v_fma_f32 v76, v72, v60, -v76
	v_fmac_f32_e32 v77, v73, v60
	v_fma_f32 v78, v78, v62, -v113
	v_fmamk_f32 v72, v139, 0x3f5db3d7, v64
	v_fmac_f32_e32 v64, 0xbf5db3d7, v139
	v_fmamk_f32 v73, v141, 0xbf5db3d7, v65
	v_fmac_f32_e32 v65, 0x3f5db3d7, v141
	v_mul_f32_e32 v133, v75, v57
	v_mul_f32_e32 v134, v74, v57
	;; [unrolled: 1-line block ×3, first 2 shown]
	v_fmac_f32_e32 v129, v79, v62
	v_fma_f32 v79, v111, v58, -v135
	v_add_f32_e32 v111, v76, v78
	v_fma_f32 v74, v74, v56, -v133
	v_fmac_f32_e32 v134, v75, v56
	v_fmac_f32_e32 v136, v112, v58
	v_add_f32_e32 v75, v66, v76
	v_sub_f32_e32 v112, v77, v129
	v_add_f32_e32 v113, v67, v77
	v_fma_f32 v66, -0.5, v111, v66
	v_add_f32_e32 v77, v77, v129
	v_add_f32_e32 v130, v74, v79
	v_sub_f32_e32 v133, v134, v136
	v_add_f32_e32 v135, v69, v134
	v_add_f32_e32 v134, v134, v136
	v_sub_f32_e32 v114, v76, v78
	s_waitcnt vmcnt(0)
	v_mul_f32_e32 v138, v110, v37
	v_mul_f32_e32 v139, v109, v37
	;; [unrolled: 1-line block ×4, first 2 shown]
	v_add_f32_e32 v76, v68, v74
	v_fma_f32 v109, v109, v36, -v138
	v_fmac_f32_e32 v139, v110, v36
	v_fma_f32 v105, v105, v38, -v140
	v_fmac_f32_e32 v141, v106, v38
	v_sub_f32_e32 v137, v74, v79
	v_add_f32_e32 v74, v75, v78
	v_add_f32_e32 v75, v113, v129
	v_add_f32_e32 v106, v109, v105
	v_add_f32_e32 v111, v139, v141
	ds_write_b64 v115, v[72:73] offset:2160
	v_fmamk_f32 v72, v112, 0x3f5db3d7, v66
	v_fmac_f32_e32 v66, 0xbf5db3d7, v112
	v_add_f32_e32 v110, v107, v109
	v_sub_f32_e32 v112, v139, v141
	v_add_f32_e32 v113, v108, v139
	v_fmac_f32_e32 v107, -0.5, v106
	v_sub_f32_e32 v106, v109, v105
	v_fmac_f32_e32 v108, -0.5, v111
	v_fmac_f32_e32 v67, -0.5, v77
	v_fma_f32 v68, -0.5, v130, v68
	v_fmac_f32_e32 v69, -0.5, v134
	v_add_f32_e32 v109, v110, v105
	v_add_f32_e32 v110, v113, v141
	v_fmamk_f32 v111, v112, 0x3f5db3d7, v107
	v_fmac_f32_e32 v107, 0xbf5db3d7, v112
	v_fmamk_f32 v112, v106, 0xbf5db3d7, v108
	v_fmac_f32_e32 v108, 0x3f5db3d7, v106
	v_add_f32_e32 v76, v76, v79
	v_add_f32_e32 v77, v135, v136
	v_fmamk_f32 v73, v114, 0xbf5db3d7, v67
	v_fmamk_f32 v78, v133, 0x3f5db3d7, v68
	v_fmamk_f32 v79, v137, 0xbf5db3d7, v69
	v_fmac_f32_e32 v67, 0x3f5db3d7, v114
	v_fmac_f32_e32 v68, 0xbf5db3d7, v133
	;; [unrolled: 1-line block ×3, first 2 shown]
	ds_write_b64 v115, v[64:65] offset:4320
	ds_write2_b64 v115, v[70:71], v[74:75] offset1:81
	ds_write_b64 v115, v[76:77] offset:1296
	ds_write2_b64 v132, v[72:73], v[78:79] offset0:95 offset1:176
	ds_write2_b64 v131, v[66:67], v[68:69] offset0:109 offset1:190
	s_and_saveexec_b32 s0, vcc_lo
	s_cbranch_execz .LBB0_19
; %bb.18:
	ds_write_b64 v115, v[109:110] offset:1944
	ds_write_b64 v115, v[111:112] offset:4104
	;; [unrolled: 1-line block ×3, first 2 shown]
.LBB0_19:
	s_or_b32 exec_lo, exec_lo, s0
	v_add_co_u32 v105, s0, 0x1800, v80
	v_add_co_ci_u32_e64 v106, s0, 0, v81, s0
	s_waitcnt lgkmcnt(0)
	s_barrier
	buffer_gl0_inv
	global_load_dwordx2 v[70:71], v[105:106], off offset:336
	v_add_co_u32 v64, s0, 0x1950, v80
	v_add_co_ci_u32_e64 v65, s0, 0, v81, s0
	v_add_co_u32 v66, s0, 0x2800, v80
	v_add_co_ci_u32_e64 v67, s0, 0, v81, s0
	global_load_dwordx2 v[78:79], v[64:65], off offset:648
	v_add_co_u32 v68, s0, 0x2000, v80
	global_load_dwordx2 v[113:114], v[66:67], off offset:1856
	v_add_co_ci_u32_e64 v69, s0, 0, v81, s0
	s_clause 0x5
	global_load_dwordx2 v[137:138], v[68:69], off offset:448
	global_load_dwordx2 v[139:140], v[66:67], off offset:560
	;; [unrolled: 1-line block ×6, first 2 shown]
	ds_read2_b64 v[66:69], v115 offset1:81
	ds_read_b64 v[149:150], v115 offset:5616
	v_add_nc_u32_e32 v73, 0x1000, v115
	v_add_nc_u32_e32 v152, 0xc00, v115
	s_waitcnt vmcnt(8) lgkmcnt(1)
	v_mul_f32_e32 v72, v67, v71
	v_mul_f32_e32 v75, v66, v71
	v_fma_f32 v74, v66, v70, -v72
	v_fmac_f32_e32 v75, v67, v70
	v_add_nc_u32_e32 v66, 0x400, v115
	v_add_nc_u32_e32 v72, 0x800, v115
	s_waitcnt vmcnt(7)
	v_mul_f32_e32 v67, v69, v79
	v_mul_f32_e32 v71, v68, v79
	ds_write_b64 v115, v[74:75]
	ds_read2_b64 v[74:77], v66 offset0:34 offset1:142
	ds_read2_b64 v[129:132], v73 offset0:28 offset1:109
	;; [unrolled: 1-line block ×3, first 2 shown]
	s_waitcnt vmcnt(6) lgkmcnt(4)
	v_mul_f32_e32 v151, v150, v114
	v_mul_f32_e32 v79, v149, v114
	v_fma_f32 v70, v68, v78, -v67
	v_fmac_f32_e32 v71, v69, v78
	v_fma_f32 v78, v149, v113, -v151
	v_fmac_f32_e32 v79, v150, v113
	s_waitcnt vmcnt(5) lgkmcnt(2)
	v_mul_f32_e32 v67, v77, v138
	v_mul_f32_e32 v68, v76, v138
	s_waitcnt vmcnt(3) lgkmcnt(0)
	v_mul_f32_e32 v149, v134, v142
	v_mul_f32_e32 v138, v133, v142
	;; [unrolled: 1-line block ×4, first 2 shown]
	s_waitcnt vmcnt(2)
	v_mul_f32_e32 v150, v132, v144
	v_mul_f32_e32 v140, v131, v144
	s_waitcnt vmcnt(1)
	v_mul_f32_e32 v144, v75, v146
	v_mul_f32_e32 v142, v74, v146
	;; [unrolled: 3-line block ×3, first 2 shown]
	v_fma_f32 v67, v76, v137, -v67
	v_fmac_f32_e32 v68, v77, v137
	v_fma_f32 v137, v133, v141, -v149
	v_fmac_f32_e32 v138, v134, v141
	;; [unrolled: 2-line block ×6, first 2 shown]
	ds_write2_b64 v72, v[67:68], v[137:138] offset0:14 offset1:95
	ds_write2_b64 v115, v[70:71], v[141:142] offset0:81 offset1:162
	ds_write2_b64 v152, v[145:146], v[113:114] offset0:48 offset1:156
	ds_write2_b64 v73, v[139:140], v[78:79] offset0:109 offset1:190
	s_and_saveexec_b32 s1, vcc_lo
	s_cbranch_execz .LBB0_21
; %bb.20:
	v_add_co_u32 v69, s0, 0x1000, v64
	v_add_co_ci_u32_e64 v70, s0, 0, v65, s0
	global_load_dwordx2 v[67:68], v[64:65], off offset:1944
	v_add_co_u32 v64, s0, 0x1800, v64
	v_add_co_ci_u32_e64 v65, s0, 0, v65, s0
	s_clause 0x1
	global_load_dwordx2 v[69:70], v[69:70], off offset:8
	global_load_dwordx2 v[64:65], v[64:65], off offset:120
	ds_read_b64 v[74:75], v115 offset:1944
	ds_read_b64 v[76:77], v115 offset:4104
	;; [unrolled: 1-line block ×3, first 2 shown]
	s_waitcnt vmcnt(2) lgkmcnt(2)
	v_mul_f32_e32 v71, v75, v68
	v_mul_f32_e32 v114, v74, v68
	v_fma_f32 v113, v74, v67, -v71
	s_waitcnt vmcnt(1) lgkmcnt(1)
	v_mul_f32_e32 v71, v77, v70
	v_mul_f32_e32 v68, v76, v70
	s_waitcnt vmcnt(0) lgkmcnt(0)
	v_mul_f32_e32 v74, v79, v65
	v_mul_f32_e32 v70, v78, v65
	v_fmac_f32_e32 v114, v75, v67
	v_fma_f32 v67, v76, v69, -v71
	v_fmac_f32_e32 v68, v77, v69
	v_fma_f32 v69, v78, v64, -v74
	v_fmac_f32_e32 v70, v79, v64
	ds_write_b64 v115, v[113:114] offset:1944
	ds_write_b64 v115, v[67:68] offset:4104
	;; [unrolled: 1-line block ×3, first 2 shown]
.LBB0_21:
	s_or_b32 exec_lo, exec_lo, s1
	s_waitcnt lgkmcnt(0)
	s_barrier
	buffer_gl0_inv
	ds_read2_b64 v[68:71], v115 offset1:81
	ds_read2_b64 v[64:67], v66 offset0:34 offset1:142
	ds_read2_b64 v[76:79], v73 offset0:28 offset1:109
	;; [unrolled: 1-line block ×3, first 2 shown]
	ds_read_b64 v[113:114], v115 offset:5616
	s_and_saveexec_b32 s0, vcc_lo
	s_cbranch_execz .LBB0_23
; %bb.22:
	ds_read_b64 v[109:110], v115 offset:1944
	ds_read_b64 v[111:112], v115 offset:4104
	;; [unrolled: 1-line block ×3, first 2 shown]
.LBB0_23:
	s_or_b32 exec_lo, exec_lo, s0
	s_waitcnt lgkmcnt(2)
	v_add_f32_e32 v129, v66, v76
	v_add_f32_e32 v130, v68, v66
	v_sub_f32_e32 v132, v67, v77
	v_add_f32_e32 v133, v67, v77
	v_add_f32_e32 v67, v69, v67
	v_fma_f32 v129, -0.5, v129, v68
	s_waitcnt lgkmcnt(1)
	v_add_f32_e32 v68, v72, v78
	v_add_f32_e32 v131, v130, v76
	v_fma_f32 v130, -0.5, v133, v69
	v_sub_f32_e32 v66, v66, v76
	v_fmamk_f32 v133, v132, 0xbf5db3d7, v129
	v_fmac_f32_e32 v129, 0x3f5db3d7, v132
	v_add_f32_e32 v132, v67, v77
	v_add_f32_e32 v67, v70, v72
	v_fma_f32 v70, -0.5, v68, v70
	v_sub_f32_e32 v68, v73, v79
	v_fmamk_f32 v134, v66, 0x3f5db3d7, v130
	v_fmac_f32_e32 v130, 0xbf5db3d7, v66
	v_add_f32_e32 v76, v67, v78
	v_add_f32_e32 v66, v73, v79
	v_fmamk_f32 v135, v68, 0xbf5db3d7, v70
	v_add_f32_e32 v67, v71, v73
	v_fmac_f32_e32 v70, 0x3f5db3d7, v68
	s_waitcnt lgkmcnt(0)
	v_add_f32_e32 v68, v74, v113
	v_fmac_f32_e32 v71, -0.5, v66
	v_sub_f32_e32 v66, v72, v78
	v_add_f32_e32 v77, v67, v79
	v_add_f32_e32 v67, v64, v74
	v_fma_f32 v64, -0.5, v68, v64
	v_sub_f32_e32 v68, v75, v114
	v_fmamk_f32 v136, v66, 0x3f5db3d7, v71
	v_fmac_f32_e32 v71, 0xbf5db3d7, v66
	v_add_f32_e32 v72, v67, v113
	v_add_f32_e32 v66, v65, v75
	v_fmamk_f32 v78, v68, 0xbf5db3d7, v64
	v_add_f32_e32 v67, v75, v114
	v_fmac_f32_e32 v64, 0x3f5db3d7, v68
	v_add_f32_e32 v68, v111, v107
	v_add_f32_e32 v69, v112, v108
	;; [unrolled: 1-line block ×3, first 2 shown]
	v_fmac_f32_e32 v65, -0.5, v67
	v_sub_f32_e32 v74, v74, v113
	v_fma_f32 v66, -0.5, v68, v109
	v_sub_f32_e32 v75, v112, v108
	v_fma_f32 v67, -0.5, v69, v110
	v_sub_f32_e32 v113, v111, v107
	v_fmamk_f32 v79, v74, 0x3f5db3d7, v65
	v_fmac_f32_e32 v65, 0xbf5db3d7, v74
	v_fmamk_f32 v68, v75, 0xbf5db3d7, v66
	v_fmac_f32_e32 v66, 0x3f5db3d7, v75
	;; [unrolled: 2-line block ×3, first 2 shown]
	s_barrier
	buffer_gl0_inv
	ds_write2_b64 v119, v[131:132], v[133:134] offset1:1
	ds_write_b64 v119, v[129:130] offset:16
	ds_write2_b64 v120, v[76:77], v[135:136] offset1:1
	ds_write_b64 v120, v[70:71] offset:16
	;; [unrolled: 2-line block ×3, first 2 shown]
	s_and_saveexec_b32 s0, vcc_lo
	s_cbranch_execz .LBB0_25
; %bb.24:
	v_add_f32_e32 v64, v110, v112
	v_add_f32_e32 v70, v109, v111
	v_lshlrev_b32_e32 v71, 3, v117
	v_add_f32_e32 v65, v64, v108
	v_add_f32_e32 v64, v70, v107
	ds_write2_b64 v71, v[64:65], v[68:69] offset1:1
	ds_write_b64 v71, v[66:67] offset:16
.LBB0_25:
	s_or_b32 exec_lo, exec_lo, s0
	s_waitcnt lgkmcnt(0)
	s_barrier
	buffer_gl0_inv
	ds_read2_b64 v[70:73], v115 offset1:81
	ds_read2_b64 v[74:77], v115 offset0:162 offset1:243
	v_add_nc_u32_e32 v78, 0x800, v115
	v_add_nc_u32_e32 v64, 0xc00, v115
	;; [unrolled: 1-line block ×3, first 2 shown]
	ds_read2_b64 v[107:110], v78 offset0:68 offset1:149
	ds_read2_b64 v[111:114], v64 offset0:102 offset1:183
	;; [unrolled: 1-line block ×3, first 2 shown]
	s_waitcnt lgkmcnt(0)
	s_barrier
	buffer_gl0_inv
	v_mul_f32_e32 v64, v13, v73
	v_mul_f32_e32 v13, v13, v72
	;; [unrolled: 1-line block ×6, first 2 shown]
	v_fmac_f32_e32 v64, v12, v72
	v_fma_f32 v12, v12, v73, -v13
	v_fmac_f32_e32 v65, v14, v74
	v_fma_f32 v13, v14, v75, -v15
	;; [unrolled: 2-line block ×3, first 2 shown]
	v_mul_f32_e32 v9, v11, v108
	v_mul_f32_e32 v14, v5, v110
	;; [unrolled: 1-line block ×5, first 2 shown]
	v_fmac_f32_e32 v9, v10, v107
	v_fmac_f32_e32 v14, v4, v109
	v_mul_f32_e32 v7, v7, v111
	v_fma_f32 v4, v4, v110, -v5
	v_fmac_f32_e32 v15, v6, v111
	v_mul_f32_e32 v5, v3, v117
	v_mul_f32_e32 v3, v3, v118
	v_fma_f32 v10, v10, v108, -v11
	v_mul_f32_e32 v11, v1, v114
	v_fma_f32 v6, v6, v112, -v7
	v_mul_f32_e32 v1, v1, v113
	v_add_f32_e32 v7, v9, v15
	v_fma_f32 v5, v2, v118, -v5
	v_add_f32_e32 v73, v70, v65
	v_fmac_f32_e32 v3, v2, v117
	v_fmac_f32_e32 v11, v0, v113
	v_fma_f32 v74, -0.5, v7, v70
	v_sub_f32_e32 v7, v13, v5
	v_fma_f32 v0, v0, v114, -v1
	v_add_f32_e32 v1, v73, v9
	v_add_f32_e32 v77, v65, v3
	v_mul_f32_e32 v72, v104, v120
	v_fmamk_f32 v73, v7, 0xbf737871, v74
	v_sub_f32_e32 v2, v10, v6
	v_sub_f32_e32 v75, v65, v9
	;; [unrolled: 1-line block ×3, first 2 shown]
	v_mul_f32_e32 v104, v104, v119
	v_add_f32_e32 v1, v1, v15
	v_fma_f32 v70, -0.5, v77, v70
	v_fmac_f32_e32 v74, 0x3f737871, v7
	v_add_f32_e32 v107, v71, v13
	v_fmac_f32_e32 v72, v103, v119
	v_fmac_f32_e32 v73, 0xbf167918, v2
	v_add_f32_e32 v75, v75, v76
	v_fma_f32 v76, v103, v120, -v104
	v_add_f32_e32 v77, v1, v3
	v_fmamk_f32 v103, v2, 0x3f737871, v70
	v_sub_f32_e32 v1, v9, v65
	v_sub_f32_e32 v104, v15, v3
	v_fmac_f32_e32 v74, 0x3f167918, v2
	v_add_f32_e32 v108, v10, v6
	v_fmac_f32_e32 v70, 0xbf737871, v2
	v_add_f32_e32 v2, v107, v10
	;; [unrolled: 2-line block ×3, first 2 shown]
	v_fma_f32 v104, -0.5, v108, v71
	v_sub_f32_e32 v3, v65, v3
	v_fmac_f32_e32 v70, 0x3f167918, v7
	v_add_f32_e32 v2, v2, v6
	v_add_f32_e32 v7, v13, v5
	v_fmac_f32_e32 v73, 0x3e9e377a, v75
	v_fmac_f32_e32 v74, 0x3e9e377a, v75
	v_fmamk_f32 v65, v3, 0x3f737871, v104
	v_sub_f32_e32 v9, v9, v15
	v_sub_f32_e32 v15, v13, v10
	;; [unrolled: 1-line block ×3, first 2 shown]
	v_fma_f32 v71, -0.5, v7, v71
	v_add_f32_e32 v107, v2, v5
	v_fmac_f32_e32 v104, 0xbf737871, v3
	v_sub_f32_e32 v2, v10, v13
	v_sub_f32_e32 v5, v6, v5
	v_add_f32_e32 v6, v64, v129
	v_fmac_f32_e32 v103, 0x3e9e377a, v1
	v_fmac_f32_e32 v70, 0x3e9e377a, v1
	;; [unrolled: 1-line block ×3, first 2 shown]
	v_add_f32_e32 v1, v15, v75
	v_fmamk_f32 v15, v9, 0xbf737871, v71
	v_fmac_f32_e32 v104, 0xbf167918, v9
	v_add_f32_e32 v2, v2, v5
	v_fmac_f32_e32 v71, 0x3f737871, v9
	v_add_f32_e32 v5, v6, v14
	v_add_f32_e32 v6, v14, v11
	v_fmac_f32_e32 v65, 0x3e9e377a, v1
	v_fmac_f32_e32 v15, 0x3f167918, v3
	v_fmac_f32_e32 v104, 0x3e9e377a, v1
	v_fmac_f32_e32 v71, 0xbf167918, v3
	v_add_f32_e32 v1, v5, v11
	v_fma_f32 v3, -0.5, v6, v64
	v_add_f32_e32 v5, v129, v72
	v_sub_f32_e32 v6, v8, v76
	v_fmac_f32_e32 v15, 0x3e9e377a, v2
	v_fmac_f32_e32 v71, 0x3e9e377a, v2
	v_add_f32_e32 v10, v1, v72
	v_sub_f32_e32 v1, v4, v0
	v_fmac_f32_e32 v64, -0.5, v5
	v_fmamk_f32 v5, v6, 0xbf737871, v3
	v_sub_f32_e32 v2, v129, v14
	v_sub_f32_e32 v7, v72, v11
	v_fmac_f32_e32 v3, 0x3f737871, v6
	v_fmamk_f32 v9, v1, 0x3f737871, v64
	v_fmac_f32_e32 v5, 0xbf167918, v1
	v_sub_f32_e32 v13, v14, v129
	v_add_f32_e32 v2, v2, v7
	v_fmac_f32_e32 v3, 0x3f167918, v1
	v_sub_f32_e32 v75, v11, v72
	v_fmac_f32_e32 v64, 0xbf737871, v1
	v_add_f32_e32 v1, v4, v0
	v_fmac_f32_e32 v5, 0x3e9e377a, v2
	v_fmac_f32_e32 v3, 0x3e9e377a, v2
	v_add_f32_e32 v2, v8, v76
	v_fmac_f32_e32 v9, 0xbf167918, v6
	v_add_f32_e32 v7, v13, v75
	v_fmac_f32_e32 v64, 0x3f167918, v6
	v_fma_f32 v1, -0.5, v1, v12
	v_sub_f32_e32 v6, v129, v72
	v_add_f32_e32 v13, v12, v8
	v_sub_f32_e32 v11, v14, v11
	v_fmac_f32_e32 v12, -0.5, v2
	v_fmac_f32_e32 v9, 0x3e9e377a, v7
	v_fmac_f32_e32 v64, 0x3e9e377a, v7
	v_fmamk_f32 v7, v6, 0x3f737871, v1
	v_sub_f32_e32 v2, v8, v4
	v_sub_f32_e32 v14, v76, v0
	v_fmamk_f32 v72, v11, 0xbf737871, v12
	v_sub_f32_e32 v8, v4, v8
	v_sub_f32_e32 v75, v0, v76
	v_fmac_f32_e32 v12, 0x3f737871, v11
	v_fmac_f32_e32 v1, 0xbf737871, v6
	;; [unrolled: 1-line block ×3, first 2 shown]
	v_add_f32_e32 v2, v2, v14
	v_fmac_f32_e32 v72, 0x3f167918, v6
	v_add_f32_e32 v8, v8, v75
	v_fmac_f32_e32 v12, 0xbf167918, v6
	v_fmac_f32_e32 v1, 0xbf167918, v11
	v_add_f32_e32 v4, v13, v4
	v_fmac_f32_e32 v7, 0x3e9e377a, v2
	v_fmac_f32_e32 v72, 0x3e9e377a, v8
	v_fmac_f32_e32 v12, 0x3e9e377a, v8
	v_fmac_f32_e32 v1, 0x3e9e377a, v2
	v_add_f32_e32 v0, v4, v0
	v_mul_f32_e32 v11, 0xbf167918, v7
	v_mul_f32_e32 v109, 0x3f4f1bbd, v7
	;; [unrolled: 1-line block ×8, first 2 shown]
	v_add_f32_e32 v76, v0, v76
	v_fmac_f32_e32 v11, 0x3f4f1bbd, v5
	v_fmac_f32_e32 v109, 0x3f167918, v5
	;; [unrolled: 1-line block ×8, first 2 shown]
	v_add_f32_e32 v0, v77, v10
	v_add_f32_e32 v2, v73, v11
	;; [unrolled: 1-line block ×10, first 2 shown]
	v_sub_f32_e32 v10, v77, v10
	v_sub_f32_e32 v12, v73, v11
	;; [unrolled: 1-line block ×10, first 2 shown]
	ds_write2_b64 v121, v[0:1], v[2:3] offset1:3
	ds_write2_b64 v121, v[4:5], v[6:7] offset0:6 offset1:9
	ds_write2_b64 v121, v[8:9], v[10:11] offset0:12 offset1:15
	;; [unrolled: 1-line block ×4, first 2 shown]
	v_add_nc_u32_e32 v0, 0x400, v115
	s_waitcnt lgkmcnt(0)
	s_barrier
	buffer_gl0_inv
	ds_read2_b64 v[4:7], v115 offset1:81
	ds_read2_b64 v[0:3], v0 offset0:34 offset1:142
	ds_read2_b64 v[12:15], v79 offset0:28 offset1:109
	;; [unrolled: 1-line block ×3, first 2 shown]
	ds_read_b64 v[70:71], v115 offset:5616
	s_and_saveexec_b32 s0, vcc_lo
	s_cbranch_execz .LBB0_27
; %bb.26:
	ds_read_b64 v[64:65], v115 offset:1944
	ds_read_b64 v[68:69], v115 offset:4104
	;; [unrolled: 1-line block ×3, first 2 shown]
.LBB0_27:
	s_or_b32 exec_lo, exec_lo, s0
	s_waitcnt lgkmcnt(3)
	v_mul_f32_e32 v72, v29, v3
	v_mul_f32_e32 v29, v29, v2
	s_waitcnt lgkmcnt(2)
	v_mul_f32_e32 v73, v31, v13
	v_mul_f32_e32 v31, v31, v12
	s_waitcnt lgkmcnt(0)
	v_fmac_f32_e32 v72, v28, v2
	v_fma_f32 v3, v28, v3, -v29
	v_mul_f32_e32 v28, v25, v9
	v_mul_f32_e32 v2, v25, v8
	v_fmac_f32_e32 v73, v30, v12
	v_fma_f32 v12, v30, v13, -v31
	v_mul_f32_e32 v13, v27, v15
	v_fmac_f32_e32 v28, v24, v8
	v_mul_f32_e32 v8, v27, v14
	v_fma_f32 v24, v24, v9, -v2
	v_mul_f32_e32 v25, v21, v11
	v_mul_f32_e32 v2, v21, v10
	v_fmac_f32_e32 v13, v26, v14
	v_fma_f32 v14, v26, v15, -v8
	v_mul_f32_e32 v15, v23, v71
	v_fmac_f32_e32 v25, v20, v10
	v_mul_f32_e32 v8, v23, v70
	v_fma_f32 v20, v20, v11, -v2
	v_mul_f32_e32 v23, v17, v69
	v_mul_f32_e32 v2, v17, v68
	v_fmac_f32_e32 v15, v22, v70
	v_fma_f32 v17, v22, v71, -v8
	v_mul_f32_e32 v8, v19, v66
	v_fmac_f32_e32 v23, v16, v68
	v_fma_f32 v16, v16, v69, -v2
	v_add_f32_e32 v2, v72, v73
	v_mul_f32_e32 v22, v19, v67
	v_add_f32_e32 v9, v4, v72
	v_fma_f32 v19, v18, v67, -v8
	v_add_f32_e32 v8, v3, v12
	v_fma_f32 v2, -0.5, v2, v4
	v_sub_f32_e32 v10, v3, v12
	v_add_f32_e32 v4, v9, v73
	v_add_f32_e32 v9, v5, v3
	v_fma_f32 v3, -0.5, v8, v5
	v_sub_f32_e32 v11, v72, v73
	v_fmamk_f32 v8, v10, 0xbf5db3d7, v2
	v_fmac_f32_e32 v2, 0x3f5db3d7, v10
	v_add_f32_e32 v10, v28, v13
	v_fmac_f32_e32 v22, v18, v66
	v_add_f32_e32 v5, v9, v12
	v_fmamk_f32 v9, v11, 0x3f5db3d7, v3
	v_add_f32_e32 v12, v6, v28
	v_fmac_f32_e32 v3, 0xbf5db3d7, v11
	v_add_f32_e32 v11, v24, v14
	v_fma_f32 v6, -0.5, v10, v6
	v_sub_f32_e32 v18, v24, v14
	v_add_f32_e32 v21, v7, v24
	v_add_f32_e32 v10, v12, v13
	v_fmac_f32_e32 v7, -0.5, v11
	v_sub_f32_e32 v24, v28, v13
	v_fmamk_f32 v12, v18, 0xbf5db3d7, v6
	v_fmac_f32_e32 v6, 0x3f5db3d7, v18
	v_add_f32_e32 v11, v21, v14
	v_add_f32_e32 v14, v25, v15
	;; [unrolled: 1-line block ×4, first 2 shown]
	v_fmamk_f32 v13, v24, 0x3f5db3d7, v7
	v_fmac_f32_e32 v7, 0xbf5db3d7, v24
	v_fma_f32 v0, -0.5, v14, v0
	v_add_f32_e32 v14, v18, v15
	v_add_f32_e32 v18, v1, v20
	v_sub_f32_e32 v24, v20, v17
	v_fmac_f32_e32 v1, -0.5, v21
	v_sub_f32_e32 v25, v25, v15
	s_barrier
	v_add_f32_e32 v15, v18, v17
	v_add_f32_e32 v17, v23, v22
	;; [unrolled: 1-line block ×3, first 2 shown]
	v_fmamk_f32 v20, v24, 0xbf5db3d7, v0
	v_fmac_f32_e32 v0, 0x3f5db3d7, v24
	v_fmamk_f32 v21, v25, 0x3f5db3d7, v1
	v_fmac_f32_e32 v1, 0xbf5db3d7, v25
	v_add_f32_e32 v24, v64, v23
	v_fmac_f32_e32 v64, -0.5, v17
	v_sub_f32_e32 v17, v16, v19
	v_add_f32_e32 v25, v65, v16
	v_fmac_f32_e32 v65, -0.5, v18
	v_sub_f32_e32 v23, v23, v22
	v_add_f32_e32 v16, v24, v22
	v_fmamk_f32 v18, v17, 0xbf5db3d7, v64
	v_fmac_f32_e32 v64, 0x3f5db3d7, v17
	v_add_f32_e32 v17, v25, v19
	v_fmamk_f32 v19, v23, 0x3f5db3d7, v65
	v_fmac_f32_e32 v65, 0xbf5db3d7, v23
	buffer_gl0_inv
	ds_write2_b64 v126, v[4:5], v[8:9] offset1:30
	ds_write_b64 v126, v[2:3] offset:480
	ds_write2_b64 v125, v[10:11], v[12:13] offset1:30
	ds_write_b64 v125, v[6:7] offset:480
	;; [unrolled: 2-line block ×3, first 2 shown]
	s_and_saveexec_b32 s0, vcc_lo
	s_cbranch_execz .LBB0_29
; %bb.28:
	v_mov_b32_e32 v0, 3
	v_lshlrev_b32_sdwa v0, v0, v122 dst_sel:DWORD dst_unused:UNUSED_PAD src0_sel:DWORD src1_sel:WORD_0
	v_add_nc_u32_e32 v1, 0x1000, v0
	ds_write2_b64 v1, v[16:17], v[18:19] offset0:208 offset1:238
	ds_write_b64 v0, v[64:65] offset:6240
.LBB0_29:
	s_or_b32 exec_lo, exec_lo, s0
	v_add_nc_u32_e32 v0, 0x400, v115
	v_add_nc_u32_e32 v8, 0x1000, v115
	;; [unrolled: 1-line block ×3, first 2 shown]
	s_waitcnt lgkmcnt(0)
	s_barrier
	buffer_gl0_inv
	ds_read2_b64 v[4:7], v115 offset1:81
	ds_read2_b64 v[0:3], v0 offset0:34 offset1:142
	ds_read2_b64 v[12:15], v8 offset0:28 offset1:109
	;; [unrolled: 1-line block ×3, first 2 shown]
	ds_read_b64 v[20:21], v115 offset:5616
	s_and_saveexec_b32 s0, vcc_lo
	s_cbranch_execz .LBB0_31
; %bb.30:
	ds_read_b64 v[16:17], v115 offset:1944
	ds_read_b64 v[18:19], v115 offset:4104
	;; [unrolled: 1-line block ×3, first 2 shown]
.LBB0_31:
	s_or_b32 exec_lo, exec_lo, s0
	s_waitcnt lgkmcnt(3)
	v_mul_f32_e32 v23, v33, v2
	v_mul_f32_e32 v22, v33, v3
	s_waitcnt lgkmcnt(2)
	v_mul_f32_e32 v24, v35, v13
	v_mul_f32_e32 v25, v35, v12
	s_waitcnt lgkmcnt(1)
	v_mul_f32_e32 v28, v41, v19
	v_fma_f32 v3, v32, v3, -v23
	v_mul_f32_e32 v23, v49, v9
	v_fmac_f32_e32 v22, v32, v2
	v_fmac_f32_e32 v24, v34, v12
	v_mul_f32_e32 v2, v49, v8
	v_fma_f32 v12, v34, v13, -v25
	v_mul_f32_e32 v13, v51, v15
	v_fmac_f32_e32 v23, v48, v8
	v_mul_f32_e32 v8, v51, v14
	v_fma_f32 v25, v48, v9, -v2
	v_mul_f32_e32 v2, v45, v10
	v_fmac_f32_e32 v13, v50, v14
	v_mul_f32_e32 v26, v45, v11
	v_fma_f32 v14, v50, v15, -v8
	s_waitcnt lgkmcnt(0)
	v_mul_f32_e32 v15, v47, v21
	v_mul_f32_e32 v8, v47, v20
	v_fma_f32 v27, v44, v11, -v2
	v_mul_f32_e32 v2, v41, v18
	v_fmac_f32_e32 v28, v40, v18
	v_fmac_f32_e32 v15, v46, v20
	v_fma_f32 v20, v46, v21, -v8
	v_mul_f32_e32 v8, v43, v64
	v_fma_f32 v18, v40, v19, -v2
	v_add_f32_e32 v2, v22, v24
	v_add_f32_e32 v9, v4, v22
	v_fmac_f32_e32 v26, v44, v10
	v_fma_f32 v19, v42, v65, -v8
	v_add_f32_e32 v8, v3, v12
	v_fma_f32 v2, -0.5, v2, v4
	v_sub_f32_e32 v10, v3, v12
	v_add_f32_e32 v4, v9, v24
	v_add_f32_e32 v9, v5, v3
	v_fma_f32 v3, -0.5, v8, v5
	v_sub_f32_e32 v11, v22, v24
	v_fmamk_f32 v8, v10, 0xbf5db3d7, v2
	v_fmac_f32_e32 v2, 0x3f5db3d7, v10
	v_add_f32_e32 v5, v9, v12
	v_add_f32_e32 v10, v23, v13
	v_fmamk_f32 v9, v11, 0x3f5db3d7, v3
	v_fmac_f32_e32 v3, 0xbf5db3d7, v11
	v_add_f32_e32 v11, v25, v14
	v_add_f32_e32 v24, v7, v25
	v_mul_f32_e32 v21, v43, v65
	v_add_f32_e32 v12, v6, v23
	v_fma_f32 v6, -0.5, v10, v6
	v_sub_f32_e32 v22, v25, v14
	v_fmac_f32_e32 v7, -0.5, v11
	v_sub_f32_e32 v23, v23, v13
	v_add_f32_e32 v11, v24, v14
	v_add_f32_e32 v14, v26, v15
	v_fmac_f32_e32 v21, v42, v64
	v_add_f32_e32 v10, v12, v13
	v_fmamk_f32 v12, v22, 0xbf5db3d7, v6
	v_fmac_f32_e32 v6, 0x3f5db3d7, v22
	v_fmamk_f32 v13, v23, 0x3f5db3d7, v7
	v_add_f32_e32 v22, v0, v26
	v_fmac_f32_e32 v7, 0xbf5db3d7, v23
	v_add_f32_e32 v23, v27, v20
	v_fma_f32 v0, -0.5, v14, v0
	v_sub_f32_e32 v24, v27, v20
	v_add_f32_e32 v25, v1, v27
	v_add_f32_e32 v14, v22, v15
	v_fmac_f32_e32 v1, -0.5, v23
	v_sub_f32_e32 v26, v26, v15
	v_fmamk_f32 v22, v24, 0xbf5db3d7, v0
	v_fmac_f32_e32 v0, 0x3f5db3d7, v24
	v_add_f32_e32 v15, v25, v20
	v_add_f32_e32 v20, v28, v21
	;; [unrolled: 1-line block ×3, first 2 shown]
	v_fmamk_f32 v23, v26, 0x3f5db3d7, v1
	v_fmac_f32_e32 v1, 0xbf5db3d7, v26
	v_add_f32_e32 v25, v16, v28
	v_fmac_f32_e32 v16, -0.5, v20
	v_sub_f32_e32 v26, v18, v19
	v_add_f32_e32 v27, v17, v18
	v_fmac_f32_e32 v17, -0.5, v24
	v_sub_f32_e32 v24, v28, v21
	v_add_f32_e32 v18, v25, v21
	v_fmamk_f32 v20, v26, 0xbf5db3d7, v16
	v_fmac_f32_e32 v16, 0x3f5db3d7, v26
	v_add_f32_e32 v19, v27, v19
	v_fmamk_f32 v21, v24, 0x3f5db3d7, v17
	v_fmac_f32_e32 v17, 0xbf5db3d7, v24
	s_barrier
	buffer_gl0_inv
	ds_write2_b64 v115, v[4:5], v[8:9] offset1:90
	ds_write_b64 v115, v[2:3] offset:1440
	ds_write2_b64 v128, v[10:11], v[12:13] offset1:90
	ds_write_b64 v128, v[6:7] offset:1440
	;; [unrolled: 2-line block ×3, first 2 shown]
	s_and_saveexec_b32 s0, vcc_lo
	s_cbranch_execz .LBB0_33
; %bb.32:
	v_mov_b32_e32 v0, 3
	v_lshlrev_b32_sdwa v0, v0, v123 dst_sel:DWORD dst_unused:UNUSED_PAD src0_sel:DWORD src1_sel:WORD_0
	v_add_nc_u32_e32 v1, 0x1000, v0
	ds_write2_b64 v1, v[18:19], v[20:21] offset0:28 offset1:118
	ds_write_b64 v0, v[16:17] offset:5760
.LBB0_33:
	s_or_b32 exec_lo, exec_lo, s0
	v_add_nc_u32_e32 v4, 0x400, v115
	v_add_nc_u32_e32 v24, 0x1000, v115
	;; [unrolled: 1-line block ×3, first 2 shown]
	s_waitcnt lgkmcnt(0)
	s_barrier
	buffer_gl0_inv
	ds_read2_b64 v[0:3], v115 offset1:81
	ds_read2_b64 v[4:7], v4 offset0:34 offset1:142
	ds_read2_b64 v[12:15], v24 offset0:28 offset1:109
	;; [unrolled: 1-line block ×3, first 2 shown]
	ds_read_b64 v[22:23], v115 offset:5616
	s_and_saveexec_b32 s0, vcc_lo
	s_cbranch_execz .LBB0_35
; %bb.34:
	ds_read_b64 v[18:19], v115 offset:1944
	ds_read_b64 v[20:21], v115 offset:4104
	;; [unrolled: 1-line block ×3, first 2 shown]
.LBB0_35:
	s_or_b32 exec_lo, exec_lo, s0
	s_waitcnt lgkmcnt(3)
	v_mul_f32_e32 v26, v53, v7
	v_mul_f32_e32 v27, v53, v6
	s_waitcnt lgkmcnt(2)
	v_mul_f32_e32 v28, v55, v13
	v_mul_f32_e32 v29, v55, v12
	s_waitcnt lgkmcnt(1)
	v_mul_f32_e32 v30, v57, v11
	v_fmac_f32_e32 v26, v52, v6
	v_fma_f32 v7, v52, v7, -v27
	v_mul_f32_e32 v27, v61, v9
	v_mul_f32_e32 v6, v61, v8
	v_fmac_f32_e32 v28, v54, v12
	v_fma_f32 v12, v54, v13, -v29
	v_mul_f32_e32 v13, v63, v15
	v_fmac_f32_e32 v27, v60, v8
	v_mul_f32_e32 v8, v63, v14
	v_fma_f32 v29, v60, v9, -v6
	v_mul_f32_e32 v6, v57, v10
	v_fmac_f32_e32 v13, v62, v14
	v_fmac_f32_e32 v30, v56, v10
	v_fma_f32 v14, v62, v15, -v8
	s_waitcnt lgkmcnt(0)
	v_mul_f32_e32 v8, v59, v22
	v_fma_f32 v31, v56, v11, -v6
	v_add_f32_e32 v6, v26, v28
	v_mul_f32_e32 v15, v59, v23
	v_add_f32_e32 v9, v0, v26
	v_fma_f32 v23, v58, v23, -v8
	v_add_f32_e32 v8, v7, v12
	v_fma_f32 v0, -0.5, v6, v0
	v_sub_f32_e32 v10, v7, v12
	v_add_f32_e32 v7, v1, v7
	v_sub_f32_e32 v11, v26, v28
	v_fma_f32 v1, -0.5, v8, v1
	v_fmac_f32_e32 v15, v58, v22
	v_fmamk_f32 v8, v10, 0xbf5db3d7, v0
	v_fmac_f32_e32 v0, 0x3f5db3d7, v10
	v_add_f32_e32 v10, v27, v13
	v_add_f32_e32 v6, v9, v28
	v_add_f32_e32 v7, v7, v12
	v_fmamk_f32 v9, v11, 0x3f5db3d7, v1
	v_add_f32_e32 v12, v2, v27
	v_fmac_f32_e32 v1, 0xbf5db3d7, v11
	v_add_f32_e32 v11, v29, v14
	v_fma_f32 v2, -0.5, v10, v2
	v_sub_f32_e32 v22, v29, v14
	v_add_f32_e32 v26, v3, v29
	v_add_f32_e32 v10, v12, v13
	v_fmac_f32_e32 v3, -0.5, v11
	v_sub_f32_e32 v27, v27, v13
	v_fmamk_f32 v12, v22, 0xbf5db3d7, v2
	v_fmac_f32_e32 v2, 0x3f5db3d7, v22
	v_add_f32_e32 v11, v26, v14
	v_add_f32_e32 v14, v30, v15
	;; [unrolled: 1-line block ×5, first 2 shown]
	v_fmamk_f32 v13, v27, 0x3f5db3d7, v3
	v_fmac_f32_e32 v3, 0xbf5db3d7, v27
	v_fma_f32 v4, -0.5, v14, v4
	v_sub_f32_e32 v27, v31, v23
	v_fmac_f32_e32 v5, -0.5, v22
	v_sub_f32_e32 v29, v30, v15
	v_add_f32_e32 v14, v26, v15
	v_add_f32_e32 v15, v28, v23
	v_fmamk_f32 v22, v27, 0xbf5db3d7, v4
	v_fmac_f32_e32 v4, 0x3f5db3d7, v27
	v_fmamk_f32 v23, v29, 0x3f5db3d7, v5
	v_fmac_f32_e32 v5, 0xbf5db3d7, v29
	ds_write_b64 v115, v[8:9] offset:2160
	ds_write_b64 v115, v[0:1] offset:4320
	ds_write2_b64 v115, v[6:7], v[10:11] offset1:81
	ds_write_b64 v115, v[14:15] offset:1296
	ds_write2_b64 v25, v[12:13], v[22:23] offset0:95 offset1:176
	ds_write2_b64 v24, v[2:3], v[4:5] offset0:109 offset1:190
	s_and_saveexec_b32 s0, vcc_lo
	s_cbranch_execz .LBB0_37
; %bb.36:
	v_mul_f32_e32 v0, v37, v20
	v_mul_f32_e32 v1, v39, v16
	;; [unrolled: 1-line block ×4, first 2 shown]
	v_fma_f32 v0, v36, v21, -v0
	v_fma_f32 v3, v38, v17, -v1
	v_fmac_f32_e32 v2, v36, v20
	v_fmac_f32_e32 v4, v38, v16
	v_add_f32_e32 v7, v19, v0
	v_add_f32_e32 v1, v0, v3
	v_sub_f32_e32 v8, v0, v3
	v_add_f32_e32 v5, v2, v4
	v_sub_f32_e32 v6, v2, v4
	v_add_f32_e32 v2, v18, v2
	v_fma_f32 v1, -0.5, v1, v19
	v_add_f32_e32 v3, v7, v3
	v_fma_f32 v0, -0.5, v5, v18
	v_add_f32_e32 v2, v2, v4
	v_fmamk_f32 v5, v6, 0xbf5db3d7, v1
	v_fmac_f32_e32 v1, 0x3f5db3d7, v6
	v_fmamk_f32 v4, v8, 0x3f5db3d7, v0
	v_fmac_f32_e32 v0, 0xbf5db3d7, v8
	ds_write_b64 v115, v[2:3] offset:1944
	ds_write_b64 v115, v[0:1] offset:4104
	;; [unrolled: 1-line block ×3, first 2 shown]
.LBB0_37:
	s_or_b32 exec_lo, exec_lo, s0
	s_waitcnt lgkmcnt(0)
	s_barrier
	buffer_gl0_inv
	ds_read2_b64 v[0:3], v115 offset1:81
	v_add_nc_u32_e32 v4, 0x400, v115
	v_mad_u64_u32 v[16:17], null, s10, v84, 0
	v_mad_u64_u32 v[18:19], null, s8, v116, 0
	ds_read2_b64 v[4:7], v4 offset0:34 offset1:142
	v_add_nc_u32_e32 v8, 0x1000, v115
	v_add_nc_u32_e32 v12, 0x800, v115
	ds_read_b64 v[20:21], v115 offset:5616
	ds_read2_b64 v[8:11], v8 offset0:28 offset1:109
	ds_read2_b64 v[12:15], v12 offset0:95 offset1:176
	s_mov_b32 s2, 0x30abee4d
	s_mov_b32 s3, 0x3f543a27
	s_mul_i32 s1, s9, 0x10e
	s_mul_hi_u32 s4, s8, 0x10e
	s_mul_i32 s0, s8, 0x10e
	s_add_i32 s1, s4, s1
	s_waitcnt lgkmcnt(4)
	v_mul_f32_e32 v24, v86, v1
	v_mul_f32_e32 v22, v86, v0
	;; [unrolled: 1-line block ×3, first 2 shown]
	s_lshl_b64 s[4:5], s[0:1], 3
	s_mul_i32 s1, s9, 0xfffffe35
	v_fmac_f32_e32 v24, v85, v0
	v_fma_f32 v1, v85, v1, -v22
	v_mad_u64_u32 v[22:23], null, s11, v84, v[17:18]
	v_mov_b32_e32 v0, v19
	v_cvt_f64_f32_e32 v[23:24], v24
	v_cvt_f64_f32_e32 v[25:26], v1
	s_waitcnt lgkmcnt(3)
	v_mul_f32_e32 v28, v96, v6
	v_fmac_f32_e32 v27, v87, v2
	v_mad_u64_u32 v[0:1], null, s9, v116, v[0:1]
	v_mov_b32_e32 v17, v22
	v_mul_f32_e32 v22, v96, v7
	v_mul_f32_e32 v1, v88, v2
	s_waitcnt lgkmcnt(1)
	v_mul_f32_e32 v29, v94, v9
	v_mul_f32_e32 v32, v94, v8
	s_waitcnt lgkmcnt(0)
	v_mul_f32_e32 v33, v92, v13
	v_fmac_f32_e32 v22, v95, v6
	v_fma_f32 v6, v95, v7, -v28
	v_mov_b32_e32 v19, v0
	v_fma_f32 v28, v87, v3, -v1
	v_fmac_f32_e32 v29, v93, v8
	v_cvt_f64_f32_e32 v[0:1], v22
	v_cvt_f64_f32_e32 v[2:3], v6
	v_mul_f32_e32 v34, v92, v12
	v_mul_f32_e32 v36, v98, v10
	;; [unrolled: 1-line block ×3, first 2 shown]
	v_mul_f64 v[6:7], v[23:24], s[2:3]
	v_mul_f64 v[22:23], v[25:26], s[2:3]
	v_fma_f32 v24, v93, v9, -v32
	v_lshlrev_b64 v[8:9], 3, v[16:17]
	v_lshlrev_b64 v[16:17], 3, v[18:19]
	v_cvt_f64_f32_e32 v[18:19], v29
	v_mul_f32_e32 v35, v98, v11
	v_cvt_f64_f32_e32 v[24:25], v24
	v_mul_f32_e32 v37, v90, v5
	v_mul_f32_e32 v39, v100, v15
	;; [unrolled: 1-line block ×3, first 2 shown]
	v_cvt_f64_f32_e32 v[26:27], v27
	v_cvt_f64_f32_e32 v[28:29], v28
	v_fmac_f32_e32 v33, v91, v12
	v_fma_f32 v12, v91, v13, -v34
	v_fma_f32 v13, v97, v11, -v36
	v_add_co_u32 v36, s0, s6, v8
	v_mul_f64 v[0:1], v[0:1], s[2:3]
	v_mul_f64 v[2:3], v[2:3], s[2:3]
	v_fma_f32 v34, v89, v5, -v38
	v_add_co_ci_u32_e64 v38, s0, s7, v9, s0
	v_cvt_f32_f64_e32 v6, v[6:7]
	v_cvt_f32_f64_e32 v7, v[22:23]
	v_mul_f32_e32 v30, v102, v21
	v_mul_f32_e32 v31, v102, v20
	v_fmac_f32_e32 v35, v97, v10
	v_fmac_f32_e32 v37, v89, v4
	v_cvt_f64_f32_e32 v[4:5], v33
	v_cvt_f64_f32_e32 v[8:9], v12
	v_fmac_f32_e32 v39, v99, v14
	v_fma_f32 v14, v99, v15, -v32
	v_add_co_u32 v16, s0, v36, v16
	v_add_co_ci_u32_e64 v17, s0, v38, v17, s0
	v_fmac_f32_e32 v30, v101, v20
	v_fma_f32 v31, v101, v21, -v31
	v_cvt_f64_f32_e32 v[10:11], v35
	v_cvt_f64_f32_e32 v[12:13], v13
	v_cvt_f32_f64_e32 v0, v[0:1]
	v_cvt_f32_f64_e32 v1, v[2:3]
	v_cvt_f64_f32_e32 v[2:3], v34
	v_cvt_f64_f32_e32 v[14:15], v14
	v_mul_f64 v[18:19], v[18:19], s[2:3]
	v_mul_f64 v[22:23], v[24:25], s[2:3]
	v_cvt_f64_f32_e32 v[24:25], v37
	global_store_dwordx2 v[16:17], v[6:7], off
	v_cvt_f64_f32_e32 v[6:7], v39
	v_cvt_f64_f32_e32 v[20:21], v30
	;; [unrolled: 1-line block ×3, first 2 shown]
	v_mul_f64 v[26:27], v[26:27], s[2:3]
	v_mul_f64 v[28:29], v[28:29], s[2:3]
	;; [unrolled: 1-line block ×4, first 2 shown]
	v_add_co_u32 v16, s0, v16, s4
	v_add_co_ci_u32_e64 v17, s0, s5, v17, s0
	v_mul_f64 v[10:11], v[10:11], s[2:3]
	v_mul_f64 v[12:13], v[12:13], s[2:3]
	global_store_dwordx2 v[16:17], v[0:1], off
	v_mul_f64 v[2:3], v[2:3], s[2:3]
	v_mul_f64 v[14:15], v[14:15], s[2:3]
	v_cvt_f32_f64_e32 v18, v[18:19]
	v_cvt_f32_f64_e32 v19, v[22:23]
	v_add_co_u32 v22, s0, v16, s4
	v_mul_f64 v[24:25], v[24:25], s[2:3]
	v_add_co_ci_u32_e64 v23, s0, s5, v17, s0
	v_mul_f64 v[6:7], v[6:7], s[2:3]
	s_mul_hi_u32 s0, s8, 0xfffffe35
	v_mul_f64 v[20:21], v[20:21], s[2:3]
	v_mul_f64 v[30:31], v[30:31], s[2:3]
	s_sub_i32 s0, s0, s8
	v_cvt_f32_f64_e32 v26, v[26:27]
	s_add_i32 s1, s0, s1
	s_mul_i32 s0, s8, 0xfffffe35
	v_cvt_f32_f64_e32 v27, v[28:29]
	s_lshl_b64 s[6:7], s[0:1], 3
	v_cvt_f32_f64_e32 v4, v[4:5]
	v_add_co_u32 v28, s0, v22, s6
	v_add_co_ci_u32_e64 v29, s0, s7, v23, s0
	v_cvt_f32_f64_e32 v5, v[8:9]
	v_add_co_u32 v8, s0, v28, s4
	v_add_co_ci_u32_e64 v9, s0, s5, v29, s0
	v_cvt_f32_f64_e32 v10, v[10:11]
	v_cvt_f32_f64_e32 v11, v[12:13]
	;; [unrolled: 1-line block ×4, first 2 shown]
	v_add_co_u32 v14, s0, v8, s4
	v_cvt_f32_f64_e32 v12, v[24:25]
	v_add_co_ci_u32_e64 v15, s0, s5, v9, s0
	v_cvt_f32_f64_e32 v2, v[6:7]
	v_cvt_f32_f64_e32 v6, v[20:21]
	;; [unrolled: 1-line block ×3, first 2 shown]
	v_add_co_u32 v16, s0, v14, s6
	v_add_co_ci_u32_e64 v17, s0, s7, v15, s0
	global_store_dwordx2 v[22:23], v[18:19], off
	v_add_co_u32 v18, s0, v16, s4
	v_add_co_ci_u32_e64 v19, s0, s5, v17, s0
	global_store_dwordx2 v[28:29], v[26:27], off
	;; [unrolled: 3-line block ×3, first 2 shown]
	global_store_dwordx2 v[14:15], v[10:11], off
	global_store_dwordx2 v[16:17], v[12:13], off
	;; [unrolled: 1-line block ×4, first 2 shown]
	s_and_b32 exec_lo, exec_lo, vcc_lo
	s_cbranch_execz .LBB0_39
; %bb.38:
	s_clause 0x2
	global_load_dwordx2 v[2:3], v[80:81], off offset:1944
	global_load_dwordx2 v[4:5], v[82:83], off offset:8
	;; [unrolled: 1-line block ×3, first 2 shown]
	ds_read_b64 v[8:9], v115 offset:1944
	ds_read_b64 v[10:11], v115 offset:4104
	;; [unrolled: 1-line block ×3, first 2 shown]
	v_add_co_u32 v0, vcc_lo, v0, s6
	v_add_co_ci_u32_e32 v1, vcc_lo, s7, v1, vcc_lo
	s_waitcnt vmcnt(2) lgkmcnt(2)
	v_mul_f32_e32 v14, v9, v3
	v_mul_f32_e32 v3, v8, v3
	s_waitcnt vmcnt(1) lgkmcnt(1)
	v_mul_f32_e32 v15, v11, v5
	v_mul_f32_e32 v5, v10, v5
	;; [unrolled: 3-line block ×3, first 2 shown]
	v_fmac_f32_e32 v14, v8, v2
	v_fma_f32 v8, v2, v9, -v3
	v_fmac_f32_e32 v15, v10, v4
	v_fma_f32 v9, v4, v11, -v5
	;; [unrolled: 2-line block ×3, first 2 shown]
	v_cvt_f64_f32_e32 v[2:3], v14
	v_cvt_f64_f32_e32 v[4:5], v8
	;; [unrolled: 1-line block ×6, first 2 shown]
	v_mul_f64 v[2:3], v[2:3], s[2:3]
	v_mul_f64 v[4:5], v[4:5], s[2:3]
	;; [unrolled: 1-line block ×6, first 2 shown]
	v_cvt_f32_f64_e32 v2, v[2:3]
	v_cvt_f32_f64_e32 v3, v[4:5]
	;; [unrolled: 1-line block ×6, first 2 shown]
	v_add_co_u32 v8, vcc_lo, v0, s4
	v_add_co_ci_u32_e32 v9, vcc_lo, s5, v1, vcc_lo
	v_add_co_u32 v10, vcc_lo, v8, s4
	v_add_co_ci_u32_e32 v11, vcc_lo, s5, v9, vcc_lo
	global_store_dwordx2 v[0:1], v[2:3], off
	global_store_dwordx2 v[8:9], v[4:5], off
	;; [unrolled: 1-line block ×3, first 2 shown]
.LBB0_39:
	s_endpgm
	.section	.rodata,"a",@progbits
	.p2align	6, 0x0
	.amdhsa_kernel bluestein_single_back_len810_dim1_sp_op_CI_CI
		.amdhsa_group_segment_fixed_size 6480
		.amdhsa_private_segment_fixed_size 0
		.amdhsa_kernarg_size 104
		.amdhsa_user_sgpr_count 6
		.amdhsa_user_sgpr_private_segment_buffer 1
		.amdhsa_user_sgpr_dispatch_ptr 0
		.amdhsa_user_sgpr_queue_ptr 0
		.amdhsa_user_sgpr_kernarg_segment_ptr 1
		.amdhsa_user_sgpr_dispatch_id 0
		.amdhsa_user_sgpr_flat_scratch_init 0
		.amdhsa_user_sgpr_private_segment_size 0
		.amdhsa_wavefront_size32 1
		.amdhsa_uses_dynamic_stack 0
		.amdhsa_system_sgpr_private_segment_wavefront_offset 0
		.amdhsa_system_sgpr_workgroup_id_x 1
		.amdhsa_system_sgpr_workgroup_id_y 0
		.amdhsa_system_sgpr_workgroup_id_z 0
		.amdhsa_system_sgpr_workgroup_info 0
		.amdhsa_system_vgpr_workitem_id 0
		.amdhsa_next_free_vgpr 153
		.amdhsa_next_free_sgpr 16
		.amdhsa_reserve_vcc 1
		.amdhsa_reserve_flat_scratch 0
		.amdhsa_float_round_mode_32 0
		.amdhsa_float_round_mode_16_64 0
		.amdhsa_float_denorm_mode_32 3
		.amdhsa_float_denorm_mode_16_64 3
		.amdhsa_dx10_clamp 1
		.amdhsa_ieee_mode 1
		.amdhsa_fp16_overflow 0
		.amdhsa_workgroup_processor_mode 1
		.amdhsa_memory_ordered 1
		.amdhsa_forward_progress 0
		.amdhsa_shared_vgpr_count 0
		.amdhsa_exception_fp_ieee_invalid_op 0
		.amdhsa_exception_fp_denorm_src 0
		.amdhsa_exception_fp_ieee_div_zero 0
		.amdhsa_exception_fp_ieee_overflow 0
		.amdhsa_exception_fp_ieee_underflow 0
		.amdhsa_exception_fp_ieee_inexact 0
		.amdhsa_exception_int_div_zero 0
	.end_amdhsa_kernel
	.text
.Lfunc_end0:
	.size	bluestein_single_back_len810_dim1_sp_op_CI_CI, .Lfunc_end0-bluestein_single_back_len810_dim1_sp_op_CI_CI
                                        ; -- End function
	.section	.AMDGPU.csdata,"",@progbits
; Kernel info:
; codeLenInByte = 11616
; NumSgprs: 18
; NumVgprs: 153
; ScratchSize: 0
; MemoryBound: 0
; FloatMode: 240
; IeeeMode: 1
; LDSByteSize: 6480 bytes/workgroup (compile time only)
; SGPRBlocks: 2
; VGPRBlocks: 19
; NumSGPRsForWavesPerEU: 18
; NumVGPRsForWavesPerEU: 153
; Occupancy: 6
; WaveLimiterHint : 1
; COMPUTE_PGM_RSRC2:SCRATCH_EN: 0
; COMPUTE_PGM_RSRC2:USER_SGPR: 6
; COMPUTE_PGM_RSRC2:TRAP_HANDLER: 0
; COMPUTE_PGM_RSRC2:TGID_X_EN: 1
; COMPUTE_PGM_RSRC2:TGID_Y_EN: 0
; COMPUTE_PGM_RSRC2:TGID_Z_EN: 0
; COMPUTE_PGM_RSRC2:TIDIG_COMP_CNT: 0
	.text
	.p2alignl 6, 3214868480
	.fill 48, 4, 3214868480
	.type	__hip_cuid_1e241acebca3ae0f,@object ; @__hip_cuid_1e241acebca3ae0f
	.section	.bss,"aw",@nobits
	.globl	__hip_cuid_1e241acebca3ae0f
__hip_cuid_1e241acebca3ae0f:
	.byte	0                               ; 0x0
	.size	__hip_cuid_1e241acebca3ae0f, 1

	.ident	"AMD clang version 19.0.0git (https://github.com/RadeonOpenCompute/llvm-project roc-6.4.0 25133 c7fe45cf4b819c5991fe208aaa96edf142730f1d)"
	.section	".note.GNU-stack","",@progbits
	.addrsig
	.addrsig_sym __hip_cuid_1e241acebca3ae0f
	.amdgpu_metadata
---
amdhsa.kernels:
  - .args:
      - .actual_access:  read_only
        .address_space:  global
        .offset:         0
        .size:           8
        .value_kind:     global_buffer
      - .actual_access:  read_only
        .address_space:  global
        .offset:         8
        .size:           8
        .value_kind:     global_buffer
      - .actual_access:  read_only
        .address_space:  global
        .offset:         16
        .size:           8
        .value_kind:     global_buffer
      - .actual_access:  read_only
        .address_space:  global
        .offset:         24
        .size:           8
        .value_kind:     global_buffer
      - .actual_access:  read_only
        .address_space:  global
        .offset:         32
        .size:           8
        .value_kind:     global_buffer
      - .offset:         40
        .size:           8
        .value_kind:     by_value
      - .address_space:  global
        .offset:         48
        .size:           8
        .value_kind:     global_buffer
      - .address_space:  global
        .offset:         56
        .size:           8
        .value_kind:     global_buffer
      - .address_space:  global
        .offset:         64
        .size:           8
        .value_kind:     global_buffer
      - .address_space:  global
        .offset:         72
        .size:           8
        .value_kind:     global_buffer
      - .offset:         80
        .size:           4
        .value_kind:     by_value
      - .address_space:  global
        .offset:         88
        .size:           8
        .value_kind:     global_buffer
      - .address_space:  global
        .offset:         96
        .size:           8
        .value_kind:     global_buffer
    .group_segment_fixed_size: 6480
    .kernarg_segment_align: 8
    .kernarg_segment_size: 104
    .language:       OpenCL C
    .language_version:
      - 2
      - 0
    .max_flat_workgroup_size: 81
    .name:           bluestein_single_back_len810_dim1_sp_op_CI_CI
    .private_segment_fixed_size: 0
    .sgpr_count:     18
    .sgpr_spill_count: 0
    .symbol:         bluestein_single_back_len810_dim1_sp_op_CI_CI.kd
    .uniform_work_group_size: 1
    .uses_dynamic_stack: false
    .vgpr_count:     153
    .vgpr_spill_count: 0
    .wavefront_size: 32
    .workgroup_processor_mode: 1
amdhsa.target:   amdgcn-amd-amdhsa--gfx1030
amdhsa.version:
  - 1
  - 2
...

	.end_amdgpu_metadata
